;; amdgpu-corpus repo=ROCm/rocFFT kind=compiled arch=gfx906 opt=O3
	.text
	.amdgcn_target "amdgcn-amd-amdhsa--gfx906"
	.amdhsa_code_object_version 6
	.protected	bluestein_single_fwd_len1584_dim1_dp_op_CI_CI ; -- Begin function bluestein_single_fwd_len1584_dim1_dp_op_CI_CI
	.globl	bluestein_single_fwd_len1584_dim1_dp_op_CI_CI
	.p2align	8
	.type	bluestein_single_fwd_len1584_dim1_dp_op_CI_CI,@function
bluestein_single_fwd_len1584_dim1_dp_op_CI_CI: ; @bluestein_single_fwd_len1584_dim1_dp_op_CI_CI
; %bb.0:
	s_load_dwordx4 s[12:15], s[4:5], 0x28
	s_mov_b64 s[54:55], s[2:3]
	v_mul_u32_u24_e32 v1, 0x175, v0
	s_mov_b64 s[52:53], s[0:1]
	v_add_u32_sdwa v237, s6, v1 dst_sel:DWORD dst_unused:UNUSED_PAD src0_sel:DWORD src1_sel:WORD_1
	v_mov_b32_e32 v238, 0
	s_add_u32 s52, s52, s7
	s_waitcnt lgkmcnt(0)
	v_cmp_gt_u64_e32 vcc, s[12:13], v[237:238]
	s_addc_u32 s53, s53, 0
	s_and_saveexec_b64 s[0:1], vcc
	s_cbranch_execz .LBB0_39
; %bb.1:
	s_load_dwordx4 s[0:3], s[4:5], 0x18
	s_load_dwordx2 s[16:17], s[4:5], 0x0
	s_waitcnt lgkmcnt(0)
	s_load_dwordx4 s[8:11], s[0:1], 0x0
	s_movk_i32 s0, 0xb0
	v_mul_lo_u16_sdwa v1, v1, s0 dst_sel:DWORD dst_unused:UNUSED_PAD src0_sel:WORD_1 src1_sel:DWORD
	v_sub_u16_e32 v217, v0, v1
	v_lshlrev_b32_e32 v255, 4, v217
	s_waitcnt lgkmcnt(0)
	v_mad_u64_u32 v[0:1], s[0:1], s10, v237, 0
	v_mad_u64_u32 v[2:3], s[0:1], s8, v217, 0
	v_add_co_u32_e64 v215, s[6:7], s16, v255
	v_mad_u64_u32 v[4:5], s[0:1], s11, v237, v[1:2]
	v_mad_u64_u32 v[5:6], s[0:1], s9, v217, v[3:4]
	v_mov_b32_e32 v1, v4
	v_lshlrev_b64 v[0:1], 4, v[0:1]
	v_mov_b32_e32 v6, s15
	v_mov_b32_e32 v3, v5
	v_add_co_u32_e32 v4, vcc, s14, v0
	v_addc_co_u32_e32 v5, vcc, v6, v1, vcc
	v_lshlrev_b64 v[0:1], 4, v[2:3]
	s_mul_i32 s0, s9, 0x18c
	s_mul_hi_u32 s1, s8, 0x18c
	v_add_co_u32_e32 v0, vcc, v4, v0
	v_mov_b32_e32 v2, s17
	s_add_i32 s1, s1, s0
	s_mul_i32 s0, s8, 0x18c
	v_addc_co_u32_e32 v1, vcc, v5, v1, vcc
	v_addc_co_u32_e64 v216, vcc, 0, v2, s[6:7]
	s_lshl_b64 s[14:15], s[0:1], 4
	v_mov_b32_e32 v37, s15
	v_add_co_u32_e32 v4, vcc, s14, v0
	v_addc_co_u32_e32 v5, vcc, v1, v37, vcc
	s_movk_i32 s0, 0x1000
	global_load_dwordx4 v[38:41], v[0:1], off
	global_load_dwordx4 v[42:45], v[4:5], off
	v_add_co_u32_e32 v0, vcc, s0, v215
	v_addc_co_u32_e32 v1, vcc, 0, v216, vcc
	v_add_co_u32_e32 v8, vcc, s14, v4
	v_addc_co_u32_e32 v9, vcc, v5, v37, vcc
	s_movk_i32 s0, 0x3000
	v_add_co_u32_e32 v24, vcc, s0, v215
	v_addc_co_u32_e32 v25, vcc, 0, v216, vcc
	v_add_co_u32_e32 v12, vcc, s14, v8
	v_addc_co_u32_e32 v13, vcc, v9, v37, vcc
	s_movk_i32 s0, 0x4000
	s_mul_hi_u32 s1, s8, 0xfffffc0c
	v_add_co_u32_e32 v32, vcc, s0, v215
	s_mul_i32 s0, s9, 0xfffffc0c
	s_sub_i32 s1, s1, s8
	s_add_i32 s1, s1, s0
	s_mul_i32 s0, s8, 0xfffffc0c
	v_addc_co_u32_e32 v33, vcc, 0, v216, vcc
	s_lshl_b64 s[18:19], s[0:1], 4
	v_mov_b32_e32 v14, s19
	v_add_co_u32_e32 v16, vcc, s18, v12
	v_addc_co_u32_e32 v17, vcc, v13, v14, vcc
	global_load_dwordx4 v[0:3], v[0:1], off offset:2240
	v_add_co_u32_e32 v20, vcc, s14, v16
	global_load_dwordx4 v[46:49], v[8:9], off
	global_load_dwordx4 v[50:53], v[12:13], off
	global_load_dwordx4 v[4:7], v[24:25], off offset:384
	v_addc_co_u32_e32 v21, vcc, v17, v37, vcc
	global_load_dwordx4 v[8:11], v[32:33], off offset:2624
	global_load_dwordx4 v[54:57], v[16:17], off
	global_load_dwordx4 v[28:31], v255, s[16:17]
	global_load_dwordx4 v[12:15], v255, s[16:17] offset:2816
	s_movk_i32 s0, 0x2000
	v_add_co_u32_e32 v34, vcc, s0, v215
	v_addc_co_u32_e32 v35, vcc, 0, v216, vcc
	v_add_co_u32_e32 v26, vcc, s14, v20
	v_addc_co_u32_e32 v27, vcc, v21, v37, vcc
	;; [unrolled: 2-line block ×3, first 2 shown]
	s_movk_i32 s0, 0x5000
	global_load_dwordx4 v[58:61], v[20:21], off
	global_load_dwordx4 v[16:19], v[34:35], off offset:960
	global_load_dwordx4 v[62:65], v[26:27], off
	s_nop 0
	global_load_dwordx4 v[20:23], v[24:25], off offset:3200
	v_add_co_u32_e32 v24, vcc, s0, v215
	v_addc_co_u32_e32 v25, vcc, 0, v216, vcc
	global_load_dwordx4 v[66:69], v[36:37], off
	v_cmp_gt_u16_e64 s[0:1], 44, v217
	global_load_dwordx4 v[24:27], v[24:25], off offset:1344
	s_load_dwordx2 s[12:13], s[4:5], 0x38
	s_load_dwordx4 s[8:11], s[2:3], 0x0
	s_waitcnt vmcnt(13)
	v_mul_f64 v[74:75], v[44:45], v[2:3]
	v_mul_f64 v[76:77], v[42:43], v[2:3]
	s_waitcnt vmcnt(10)
	v_mul_f64 v[78:79], v[48:49], v[6:7]
	v_mul_f64 v[80:81], v[46:47], v[6:7]
	;; [unrolled: 3-line block ×3, first 2 shown]
	v_mul_f64 v[82:83], v[52:53], v[10:11]
	v_mul_f64 v[84:85], v[50:51], v[10:11]
	v_fma_f64 v[42:43], v[42:43], v[0:1], v[74:75]
	v_fma_f64 v[44:45], v[44:45], v[0:1], -v[76:77]
	v_fma_f64 v[46:47], v[46:47], v[4:5], v[78:79]
	v_fma_f64 v[48:49], v[48:49], v[4:5], -v[80:81]
	;; [unrolled: 2-line block ×3, first 2 shown]
	s_waitcnt vmcnt(6)
	v_mul_f64 v[70:71], v[56:57], v[14:15]
	v_mul_f64 v[72:73], v[54:55], v[14:15]
	v_fma_f64 v[50:51], v[50:51], v[8:9], v[82:83]
	v_fma_f64 v[52:53], v[52:53], v[8:9], -v[84:85]
	s_waitcnt vmcnt(4)
	v_mul_f64 v[74:75], v[60:61], v[18:19]
	v_mul_f64 v[76:77], v[58:59], v[18:19]
	s_waitcnt vmcnt(2)
	v_mul_f64 v[78:79], v[64:65], v[22:23]
	v_mul_f64 v[80:81], v[62:63], v[22:23]
	v_fma_f64 v[54:55], v[54:55], v[12:13], v[70:71]
	v_fma_f64 v[56:57], v[56:57], v[12:13], -v[72:73]
	s_waitcnt vmcnt(0)
	v_mul_f64 v[82:83], v[68:69], v[26:27]
	v_mul_f64 v[84:85], v[66:67], v[26:27]
	v_fma_f64 v[58:59], v[58:59], v[16:17], v[74:75]
	v_fma_f64 v[60:61], v[60:61], v[16:17], -v[76:77]
	v_fma_f64 v[62:63], v[62:63], v[20:21], v[78:79]
	v_fma_f64 v[64:65], v[64:65], v[20:21], -v[80:81]
	;; [unrolled: 2-line block ×3, first 2 shown]
	ds_write_b128 v255, v[38:41]
	ds_write_b128 v255, v[42:45] offset:6336
	ds_write_b128 v255, v[46:49] offset:12672
	;; [unrolled: 1-line block ×7, first 2 shown]
	s_and_saveexec_b64 s[2:3], s[0:1]
	s_cbranch_execz .LBB0_3
; %bb.2:
	v_mov_b32_e32 v38, s19
	v_add_co_u32_e32 v44, vcc, s18, v36
	v_addc_co_u32_e32 v45, vcc, v37, v38, vcc
	v_add_co_u32_e32 v40, vcc, 0x1000, v215
	v_addc_co_u32_e32 v41, vcc, 0, v216, vcc
	v_mov_b32_e32 v62, s15
	v_add_co_u32_e32 v48, vcc, s14, v44
	v_addc_co_u32_e32 v49, vcc, v45, v62, vcc
	v_add_co_u32_e32 v60, vcc, s14, v48
	v_addc_co_u32_e32 v61, vcc, v49, v62, vcc
	v_add_co_u32_e32 v64, vcc, s14, v60
	global_load_dwordx4 v[36:39], v[44:45], off
	v_addc_co_u32_e32 v65, vcc, v61, v62, vcc
	global_load_dwordx4 v[40:43], v[40:41], off offset:1536
	s_movk_i32 s14, 0x6000
	global_load_dwordx4 v[44:47], v[48:49], off
	v_add_co_u32_e32 v66, vcc, s14, v215
	global_load_dwordx4 v[48:51], v[60:61], off
	global_load_dwordx4 v[52:55], v[34:35], off offset:3776
	global_load_dwordx4 v[56:59], v[32:33], off offset:1920
	v_addc_co_u32_e32 v67, vcc, 0, v216, vcc
	global_load_dwordx4 v[32:35], v[66:67], off offset:64
	global_load_dwordx4 v[60:63], v[64:65], off
	s_waitcnt vmcnt(6)
	v_mul_f64 v[64:65], v[38:39], v[42:43]
	v_mul_f64 v[42:43], v[36:37], v[42:43]
	s_waitcnt vmcnt(3)
	v_mul_f64 v[66:67], v[46:47], v[54:55]
	v_mul_f64 v[54:55], v[44:45], v[54:55]
	;; [unrolled: 3-line block ×4, first 2 shown]
	v_fma_f64 v[34:35], v[36:37], v[40:41], v[64:65]
	v_fma_f64 v[36:37], v[38:39], v[40:41], -v[42:43]
	v_fma_f64 v[38:39], v[44:45], v[52:53], v[66:67]
	v_fma_f64 v[40:41], v[46:47], v[52:53], -v[54:55]
	;; [unrolled: 2-line block ×4, first 2 shown]
	ds_write_b128 v255, v[34:37] offset:5632
	ds_write_b128 v255, v[38:41] offset:11968
	;; [unrolled: 1-line block ×4, first 2 shown]
.LBB0_3:
	s_or_b64 exec, exec, s[2:3]
	s_waitcnt lgkmcnt(0)
	s_barrier
	ds_read_b128 v[64:67], v255
	ds_read_b128 v[32:35], v255 offset:2816
	ds_read_b128 v[68:71], v255 offset:6336
	;; [unrolled: 1-line block ×7, first 2 shown]
                                        ; implicit-def: $vgpr40_vgpr41
                                        ; implicit-def: $vgpr52_vgpr53
                                        ; implicit-def: $vgpr48_vgpr49
                                        ; implicit-def: $vgpr44_vgpr45
	s_and_saveexec_b64 s[2:3], s[0:1]
	s_cbranch_execz .LBB0_5
; %bb.4:
	ds_read_b128 v[40:43], v255 offset:5632
	ds_read_b128 v[44:47], v255 offset:11968
	;; [unrolled: 1-line block ×4, first 2 shown]
.LBB0_5:
	s_or_b64 exec, exec, s[2:3]
	s_waitcnt lgkmcnt(3)
	v_add_f64 v[76:77], v[64:65], -v[76:77]
	v_add_f64 v[78:79], v[66:67], -v[78:79]
	s_waitcnt lgkmcnt(1)
	v_add_f64 v[72:73], v[68:69], -v[72:73]
	v_add_f64 v[74:75], v[70:71], -v[74:75]
	;; [unrolled: 1-line block ×4, first 2 shown]
	s_waitcnt lgkmcnt(0)
	v_add_f64 v[85:86], v[36:37], -v[56:57]
	v_add_f64 v[87:88], v[38:39], -v[58:59]
	v_fma_f64 v[64:65], v[64:65], 2.0, -v[76:77]
	v_fma_f64 v[66:67], v[66:67], 2.0, -v[78:79]
	;; [unrolled: 1-line block ×4, first 2 shown]
	v_add_f64 v[92:93], v[40:41], -v[48:49]
	v_add_f64 v[94:95], v[42:43], -v[50:51]
	;; [unrolled: 1-line block ×3, first 2 shown]
	v_add_f64 v[62:63], v[78:79], v[72:73]
	v_fma_f64 v[72:73], v[32:33], 2.0, -v[81:82]
	v_fma_f64 v[74:75], v[34:35], 2.0, -v[83:84]
	v_add_f64 v[56:57], v[64:65], -v[68:69]
	v_add_f64 v[58:59], v[66:67], -v[70:71]
	;; [unrolled: 1-line block ×4, first 2 shown]
	v_fma_f64 v[36:37], v[36:37], 2.0, -v[85:86]
	v_fma_f64 v[38:39], v[38:39], 2.0, -v[87:88]
	;; [unrolled: 1-line block ×4, first 2 shown]
	v_add_f64 v[52:53], v[81:82], -v[87:88]
	v_add_f64 v[54:55], v[83:84], v[85:86]
	v_fma_f64 v[40:41], v[44:45], 2.0, -v[68:69]
	v_fma_f64 v[42:43], v[46:47], 2.0, -v[70:71]
	v_add_f64 v[48:49], v[72:73], -v[36:37]
	v_add_f64 v[50:51], v[74:75], -v[38:39]
	v_fma_f64 v[64:65], v[64:65], 2.0, -v[56:57]
	v_fma_f64 v[66:67], v[66:67], 2.0, -v[58:59]
	;; [unrolled: 1-line block ×4, first 2 shown]
	v_add_f64 v[88:89], v[96:97], -v[40:41]
	v_add_f64 v[90:91], v[98:99], -v[42:43]
	;; [unrolled: 1-line block ×3, first 2 shown]
	v_add_f64 v[42:43], v[94:95], v[68:69]
	v_fma_f64 v[68:69], v[72:73], 2.0, -v[48:49]
	v_fma_f64 v[70:71], v[74:75], 2.0, -v[50:51]
	;; [unrolled: 1-line block ×8, first 2 shown]
	s_load_dwordx2 s[14:15], s[4:5], 0x8
	s_movk_i32 s2, 0xb0
	s_movk_i32 s3, 0x160
	v_add_co_u32_e32 v80, vcc, s2, v217
	v_add_co_u32_e32 v251, vcc, s3, v217
	v_lshlrev_b16_e32 v76, 2, v217
	v_lshlrev_b32_e32 v252, 4, v76
	v_lshlrev_b32_e32 v253, 6, v80
	;; [unrolled: 1-line block ×3, first 2 shown]
	s_waitcnt lgkmcnt(0)
	s_barrier
	ds_write_b128 v252, v[64:67]
	ds_write_b128 v252, v[32:35] offset:16
	ds_write_b128 v252, v[56:59] offset:32
	;; [unrolled: 1-line block ×3, first 2 shown]
	ds_write_b128 v253, v[68:71]
	ds_write_b128 v253, v[72:75] offset:16
	ds_write_b128 v253, v[48:51] offset:32
	;; [unrolled: 1-line block ×3, first 2 shown]
	s_and_saveexec_b64 s[2:3], s[0:1]
	s_cbranch_execz .LBB0_7
; %bb.6:
	ds_write_b128 v168, v[36:39]
	ds_write_b128 v168, v[44:47] offset:16
	ds_write_b128 v168, v[88:91] offset:32
	;; [unrolled: 1-line block ×3, first 2 shown]
.LBB0_7:
	s_or_b64 exec, exec, s[2:3]
	s_waitcnt lgkmcnt(0)
	s_barrier
	ds_read_b128 v[48:51], v255
	ds_read_b128 v[52:55], v255 offset:2816
	ds_read_b128 v[68:71], v255 offset:12672
	;; [unrolled: 1-line block ×7, first 2 shown]
	s_movk_i32 s2, 0x58
	v_cmp_gt_u16_e64 s[2:3], s2, v217
	s_and_saveexec_b64 s[4:5], s[2:3]
	s_cbranch_execz .LBB0_9
; %bb.8:
	ds_read_b128 v[36:39], v255 offset:11264
	ds_read_b128 v[44:47], v255 offset:23936
.LBB0_9:
	s_or_b64 exec, exec, s[4:5]
	v_and_b32_e32 v249, 3, v217
	v_lshlrev_b32_e32 v32, 4, v249
	global_load_dwordx4 v[32:35], v32, s[14:15]
	v_lshlrev_b32_e32 v190, 1, v217
	s_movk_i32 s5, 0x1f8
	v_lshlrev_b32_e32 v189, 1, v80
	s_movk_i32 s18, 0x3f8
	;; [unrolled: 2-line block ×3, first 2 shown]
	v_and_or_b32 v80, v190, s5, v249
	v_add_u32_e32 v129, 0x420, v190
	v_and_or_b32 v81, v189, s18, v249
	v_and_or_b32 v82, v128, s16, v249
	v_lshlrev_b32_e32 v108, 4, v80
	v_and_or_b32 v80, v129, s16, v249
	v_lshlrev_b32_e32 v107, 4, v81
	v_lshlrev_b32_e32 v106, 4, v82
	;; [unrolled: 1-line block ×3, first 2 shown]
	s_movk_i32 s4, 0x2c0
	v_add_co_u32_e32 v104, vcc, s4, v217
	v_lshlrev_b32_e32 v238, 1, v104
	s_waitcnt vmcnt(0) lgkmcnt(0)
	s_barrier
	buffer_store_dword v108, off, s[52:55], 0 offset:12 ; 4-byte Folded Spill
	v_mul_f64 v[80:81], v[70:71], v[34:35]
	v_mul_f64 v[82:83], v[68:69], v[34:35]
	;; [unrolled: 1-line block ×10, first 2 shown]
	v_fma_f64 v[68:69], v[68:69], v[32:33], -v[80:81]
	v_fma_f64 v[70:71], v[70:71], v[32:33], v[82:83]
	v_fma_f64 v[64:65], v[64:65], v[32:33], -v[84:85]
	v_fma_f64 v[66:67], v[66:67], v[32:33], v[86:87]
	;; [unrolled: 2-line block ×5, first 2 shown]
	v_add_f64 v[68:69], v[48:49], -v[68:69]
	v_add_f64 v[70:71], v[50:51], -v[70:71]
	;; [unrolled: 1-line block ×10, first 2 shown]
	v_fma_f64 v[48:49], v[48:49], 2.0, -v[68:69]
	v_fma_f64 v[50:51], v[50:51], 2.0, -v[70:71]
	;; [unrolled: 1-line block ×10, first 2 shown]
	ds_write_b128 v108, v[68:71] offset:64
	ds_write_b128 v108, v[48:51]
	ds_write_b128 v107, v[52:55]
	buffer_store_dword v107, off, s[52:55], 0 offset:8 ; 4-byte Folded Spill
	ds_write_b128 v107, v[72:75] offset:64
	ds_write_b128 v106, v[56:59]
	buffer_store_dword v106, off, s[52:55], 0 offset:4 ; 4-byte Folded Spill
	ds_write_b128 v106, v[76:79] offset:64
	ds_write_b128 v105, v[60:63]
	buffer_store_dword v105, off, s[52:55], 0 ; 4-byte Folded Spill
	ds_write_b128 v105, v[80:83] offset:64
	s_and_saveexec_b64 s[4:5], s[2:3]
	s_cbranch_execz .LBB0_11
; %bb.10:
	v_and_or_b32 v36, v238, s16, v249
	v_lshlrev_b32_e32 v36, 4, v36
	ds_write_b128 v36, v[44:47]
	ds_write_b128 v36, v[64:67] offset:64
.LBB0_11:
	s_or_b64 exec, exec, s[4:5]
	s_waitcnt vmcnt(0) lgkmcnt(0)
	s_barrier
	ds_read_b128 v[60:63], v255
	ds_read_b128 v[56:59], v255 offset:2816
	ds_read_b128 v[80:83], v255 offset:12672
	;; [unrolled: 1-line block ×7, first 2 shown]
	s_and_saveexec_b64 s[4:5], s[2:3]
	s_cbranch_execz .LBB0_13
; %bb.12:
	ds_read_b128 v[44:47], v255 offset:11264
	ds_read_b128 v[64:67], v255 offset:23936
.LBB0_13:
	s_or_b64 exec, exec, s[4:5]
	v_and_b32_e32 v250, 7, v217
	v_lshlrev_b32_e32 v36, 4, v250
	global_load_dwordx4 v[36:39], v36, s[14:15] offset:64
	s_movk_i32 s4, 0x1f0
	s_waitcnt vmcnt(0) lgkmcnt(0)
	s_barrier
	s_movk_i32 s16, 0x7f0
	v_mul_f64 v[84:85], v[82:83], v[38:39]
	v_fma_f64 v[84:85], v[80:81], v[36:37], -v[84:85]
	v_mul_f64 v[80:81], v[80:81], v[38:39]
	v_add_f64 v[92:93], v[60:61], -v[84:85]
	v_fma_f64 v[80:81], v[82:83], v[36:37], v[80:81]
	v_mul_f64 v[82:83], v[74:75], v[38:39]
	v_fma_f64 v[84:85], v[60:61], 2.0, -v[92:93]
	v_add_f64 v[94:95], v[62:63], -v[80:81]
	v_fma_f64 v[82:83], v[72:73], v[36:37], -v[82:83]
	v_mul_f64 v[72:73], v[72:73], v[38:39]
	v_fma_f64 v[86:87], v[62:63], 2.0, -v[94:95]
	v_add_f64 v[100:101], v[56:57], -v[82:83]
	v_fma_f64 v[72:73], v[74:75], v[36:37], v[72:73]
	v_mul_f64 v[74:75], v[78:79], v[38:39]
	v_fma_f64 v[96:97], v[56:57], 2.0, -v[100:101]
	v_add_f64 v[102:103], v[58:59], -v[72:73]
	v_fma_f64 v[74:75], v[76:77], v[36:37], -v[74:75]
	v_mul_f64 v[76:77], v[76:77], v[38:39]
	v_fma_f64 v[98:99], v[58:59], 2.0, -v[102:103]
	;; [unrolled: 8-line block ×4, first 2 shown]
	v_add_f64 v[124:125], v[44:45], -v[70:71]
	v_fma_f64 v[64:65], v[66:67], v[36:37], v[64:65]
	v_fma_f64 v[120:121], v[44:45], 2.0, -v[124:125]
	v_add_f64 v[126:127], v[46:47], -v[64:65]
	v_and_or_b32 v44, v190, s4, v250
	v_lshlrev_b32_e32 v44, 4, v44
	s_movk_i32 s4, 0x3f0
	ds_write_b128 v44, v[84:87]
	buffer_store_dword v44, off, s[52:55], 0 offset:16 ; 4-byte Folded Spill
	ds_write_b128 v44, v[92:95] offset:128
	v_and_or_b32 v44, v189, s4, v250
	v_fma_f64 v[122:123], v[46:47], 2.0, -v[126:127]
	v_lshlrev_b32_e32 v44, 4, v44
	ds_write_b128 v44, v[96:99]
	buffer_store_dword v44, off, s[52:55], 0 offset:20 ; 4-byte Folded Spill
	ds_write_b128 v44, v[100:103] offset:128
	v_and_or_b32 v44, v128, s16, v250
	v_lshlrev_b32_e32 v44, 4, v44
	ds_write_b128 v44, v[104:107]
	buffer_store_dword v44, off, s[52:55], 0 offset:24 ; 4-byte Folded Spill
	ds_write_b128 v44, v[108:111] offset:128
	v_and_or_b32 v44, v129, s16, v250
	v_lshlrev_b32_e32 v44, 4, v44
	ds_write_b128 v44, v[112:115]
	buffer_store_dword v44, off, s[52:55], 0 offset:28 ; 4-byte Folded Spill
	ds_write_b128 v44, v[116:119] offset:128
	s_and_saveexec_b64 s[4:5], s[2:3]
	s_cbranch_execz .LBB0_15
; %bb.14:
	v_and_or_b32 v44, v238, s16, v250
	v_lshlrev_b32_e32 v44, 4, v44
	ds_write_b128 v44, v[120:123]
	ds_write_b128 v44, v[124:127] offset:128
.LBB0_15:
	s_or_b64 exec, exec, s[4:5]
	s_movk_i32 s4, 0x90
	v_cmp_gt_u16_e64 s[4:5], s4, v217
	s_waitcnt vmcnt(0) lgkmcnt(0)
	s_barrier
	s_and_saveexec_b64 s[18:19], s[4:5]
	s_cbranch_execz .LBB0_17
; %bb.16:
	ds_read_b128 v[84:87], v255
	ds_read_b128 v[92:95], v255 offset:2304
	ds_read_b128 v[96:99], v255 offset:4608
	;; [unrolled: 1-line block ×10, first 2 shown]
.LBB0_17:
	s_or_b64 exec, exec, s[18:19]
	v_mov_b32_e32 v45, s15
	v_and_b32_e32 v232, 15, v217
	s_movk_i32 s16, 0xa0
	v_mov_b32_e32 v44, s14
	v_mad_u64_u32 v[80:81], s[18:19], v232, s16, v[44:45]
	global_load_dwordx4 v[48:51], v[80:81], off offset:192
	global_load_dwordx4 v[44:47], v[80:81], off offset:208
	;; [unrolled: 1-line block ×9, first 2 shown]
	s_nop 0
	global_load_dwordx4 v[80:83], v[80:81], off offset:304
	s_mov_b32 s24, 0xf8bb580b
	s_mov_b32 s40, 0x8eee2c13
	;; [unrolled: 1-line block ×26, first 2 shown]
	v_lshrrev_b32_e32 v254, 4, v217
	s_waitcnt vmcnt(0) lgkmcnt(0)
	s_barrier
	v_mul_f64 v[128:129], v[94:95], v[50:51]
	v_mul_f64 v[130:131], v[92:93], v[50:51]
	;; [unrolled: 1-line block ×12, first 2 shown]
	v_fma_f64 v[144:145], v[92:93], v[48:49], -v[128:129]
	v_fma_f64 v[150:151], v[94:95], v[48:49], v[130:131]
	v_fma_f64 v[142:143], v[96:97], v[44:45], -v[132:133]
	v_fma_f64 v[146:147], v[90:91], v[64:65], v[140:141]
	v_fma_f64 v[132:133], v[88:89], v[64:65], -v[148:149]
	v_mul_f64 v[158:159], v[104:105], v[58:59]
	v_mul_f64 v[162:163], v[108:109], v[78:79]
	;; [unrolled: 1-line block ×8, first 2 shown]
	v_fma_f64 v[152:153], v[98:99], v[44:45], v[134:135]
	v_fma_f64 v[140:141], v[100:101], v[52:53], -v[136:137]
	v_fma_f64 v[154:155], v[102:103], v[52:53], v[138:139]
	v_fma_f64 v[148:149], v[126:127], v[60:61], v[173:174]
	v_fma_f64 v[138:139], v[104:105], v[56:57], -v[156:157]
	v_fma_f64 v[136:137], v[108:109], v[76:77], -v[160:161]
	;; [unrolled: 1-line block ×3, first 2 shown]
	v_add_f64 v[104:105], v[150:151], -v[146:147]
	v_add_f64 v[235:236], v[144:145], -v[132:133]
	v_fma_f64 v[156:157], v[106:107], v[56:57], v[158:159]
	v_fma_f64 v[158:159], v[110:111], v[76:77], v[162:163]
	v_fma_f64 v[134:135], v[112:113], v[72:73], -v[164:165]
	v_fma_f64 v[160:161], v[114:115], v[72:73], v[166:167]
	v_fma_f64 v[114:115], v[122:123], v[80:81], v[177:178]
	v_fma_f64 v[110:111], v[120:121], v[80:81], -v[175:176]
	v_fma_f64 v[112:113], v[116:117], v[68:69], -v[169:170]
	v_fma_f64 v[116:117], v[118:119], v[68:69], v[171:172]
	v_add_f64 v[193:194], v[144:145], v[132:133]
	v_add_f64 v[191:192], v[152:153], -v[148:149]
	v_add_f64 v[106:107], v[150:151], v[146:147]
	v_add_f64 v[241:242], v[142:143], -v[108:109]
	v_mul_f64 v[118:119], v[104:105], s[24:25]
	v_mul_f64 v[164:165], v[235:236], s[24:25]
	;; [unrolled: 1-line block ×4, first 2 shown]
	v_add_f64 v[199:200], v[142:143], v[108:109]
	v_add_f64 v[203:204], v[152:153], v[148:149]
	v_add_f64 v[195:196], v[154:155], -v[114:115]
	v_add_f64 v[243:244], v[140:141], -v[110:111]
	v_mul_f64 v[120:121], v[191:192], s[40:41]
	v_mul_f64 v[169:170], v[241:242], s[40:41]
	;; [unrolled: 1-line block ×4, first 2 shown]
	v_fma_f64 v[88:89], v[193:194], s[20:21], v[118:119]
	v_fma_f64 v[90:91], v[106:107], s[20:21], -v[164:165]
	v_fma_f64 v[92:93], v[193:194], s[22:23], v[177:178]
	v_fma_f64 v[98:99], v[106:107], s[22:23], -v[185:186]
	v_add_f64 v[205:206], v[140:141], v[110:111]
	v_add_f64 v[207:208], v[154:155], v[114:115]
	v_add_f64 v[197:198], v[156:157], -v[116:117]
	v_add_f64 v[245:246], v[138:139], -v[112:113]
	v_mul_f64 v[122:123], v[195:196], s[30:31]
	v_mul_f64 v[171:172], v[243:244], s[30:31]
	v_mul_f64 v[181:182], v[195:196], s[38:39]
	v_mul_f64 v[229:230], v[243:244], s[38:39]
	v_fma_f64 v[94:95], v[199:200], s[22:23], v[120:121]
	v_fma_f64 v[96:97], v[203:204], s[22:23], -v[169:170]
	v_add_f64 v[88:89], v[84:85], v[88:89]
	v_add_f64 v[90:91], v[86:87], v[90:91]
	v_fma_f64 v[102:103], v[199:200], s[28:29], v[179:180]
	v_add_f64 v[92:93], v[84:85], v[92:93]
	v_fma_f64 v[126:127], v[203:204], s[28:29], -v[221:222]
	v_add_f64 v[98:99], v[86:87], v[98:99]
	v_add_f64 v[213:214], v[138:139], v[112:113]
	;; [unrolled: 1-line block ×3, first 2 shown]
	v_add_f64 v[201:202], v[158:159], -v[160:161]
	v_add_f64 v[247:248], v[136:137], -v[134:135]
	v_mul_f64 v[162:163], v[197:198], s[36:37]
	v_mul_f64 v[173:174], v[245:246], s[36:37]
	v_mul_f64 v[183:184], v[197:198], s[42:43]
	v_mul_f64 v[233:234], v[245:246], s[42:43]
	v_fma_f64 v[100:101], v[205:206], s[26:27], v[122:123]
	v_fma_f64 v[124:125], v[207:208], s[26:27], -v[171:172]
	v_add_f64 v[88:89], v[94:95], v[88:89]
	v_add_f64 v[90:91], v[96:97], v[90:91]
	v_fma_f64 v[96:97], v[205:206], s[34:35], v[181:182]
	v_add_f64 v[92:93], v[102:103], v[92:93]
	v_fma_f64 v[128:129], v[207:208], s[34:35], -v[229:230]
	v_add_f64 v[98:99], v[126:127], v[98:99]
	v_add_f64 v[219:220], v[136:137], v[134:135]
	;; [unrolled: 1-line block ×3, first 2 shown]
	v_mul_f64 v[166:167], v[201:202], s[44:45]
	v_mul_f64 v[175:176], v[247:248], s[44:45]
	v_fma_f64 v[94:95], v[213:214], s[28:29], v[162:163]
	v_fma_f64 v[102:103], v[209:210], s[28:29], -v[173:174]
	v_add_f64 v[88:89], v[100:101], v[88:89]
	v_add_f64 v[90:91], v[124:125], v[90:91]
	v_mul_f64 v[187:188], v[201:202], s[46:47]
	v_fma_f64 v[100:101], v[213:214], s[26:27], v[183:184]
	v_add_f64 v[92:93], v[96:97], v[92:93]
	v_mul_f64 v[239:240], v[247:248], s[46:47]
	v_fma_f64 v[96:97], v[209:210], s[26:27], -v[233:234]
	v_add_f64 v[98:99], v[128:129], v[98:99]
	v_add_f64 v[88:89], v[94:95], v[88:89]
	;; [unrolled: 1-line block ×3, first 2 shown]
	v_fma_f64 v[94:95], v[219:220], s[34:35], v[166:167]
	v_fma_f64 v[102:103], v[211:212], s[34:35], -v[175:176]
	v_add_f64 v[92:93], v[100:101], v[92:93]
	v_fma_f64 v[100:101], v[219:220], s[20:21], v[187:188]
	v_fma_f64 v[126:127], v[211:212], s[20:21], -v[239:240]
	v_add_f64 v[96:97], v[96:97], v[98:99]
	v_add_f64 v[128:129], v[94:95], v[88:89]
	;; [unrolled: 1-line block ×5, first 2 shown]
	s_and_saveexec_b64 s[18:19], s[4:5]
	s_cbranch_execz .LBB0_19
; %bb.18:
	v_mul_f64 v[88:89], v[193:194], s[20:21]
	v_mul_f64 v[227:228], v[106:107], s[34:35]
	;; [unrolled: 1-line block ×4, first 2 shown]
	s_mov_b32 s51, 0x3fe82f19
	s_mov_b32 s50, s36
	v_mul_f64 v[94:95], v[209:210], s[22:23]
	v_mul_f64 v[92:93], v[211:212], s[26:27]
	buffer_store_dword v88, off, s[52:55], 0 offset:80 ; 4-byte Folded Spill
	s_nop 0
	buffer_store_dword v89, off, s[52:55], 0 offset:84 ; 4-byte Folded Spill
	v_mul_f64 v[88:89], v[106:107], s[20:21]
	v_fma_f64 v[102:103], v[241:242], s[24:25], v[100:101]
	v_fma_f64 v[98:99], v[243:244], s[50:51], v[96:97]
	v_mov_b32_e32 v218, v254
	v_mov_b32_e32 v254, v249
	v_fma_f64 v[90:91], v[245:246], s[40:41], v[94:95]
	v_mul_f64 v[231:232], v[195:196], s[36:37]
	s_mov_b32 s49, 0x3fed1bb4
	buffer_store_dword v88, off, s[52:55], 0 offset:104 ; 4-byte Folded Spill
	s_nop 0
	buffer_store_dword v89, off, s[52:55], 0 offset:108 ; 4-byte Folded Spill
	v_mul_f64 v[88:89], v[193:194], s[22:23]
	s_mov_b32 s48, s40
	buffer_store_dword v88, off, s[52:55], 0 offset:144 ; 4-byte Folded Spill
	s_nop 0
	buffer_store_dword v89, off, s[52:55], 0 offset:148 ; 4-byte Folded Spill
	v_mul_f64 v[88:89], v[106:107], s[22:23]
	buffer_store_dword v88, off, s[52:55], 0 offset:184 ; 4-byte Folded Spill
	s_nop 0
	buffer_store_dword v89, off, s[52:55], 0 offset:188 ; 4-byte Folded Spill
	v_mul_f64 v[88:89], v[199:200], s[22:23]
	;; [unrolled: 4-line block ×17, first 2 shown]
	buffer_store_dword v88, off, s[52:55], 0 offset:232 ; 4-byte Folded Spill
	s_nop 0
	buffer_store_dword v89, off, s[52:55], 0 offset:236 ; 4-byte Folded Spill
	buffer_store_dword v189, off, s[52:55], 0 offset:44 ; 4-byte Folded Spill
	v_fma_f64 v[189:190], v[235:236], s[38:39], v[227:228]
	v_fma_f64 v[88:89], v[247:248], s[42:43], v[92:93]
	buffer_store_dword v120, off, s[52:55], 0 offset:240 ; 4-byte Folded Spill
	s_nop 0
	buffer_store_dword v121, off, s[52:55], 0 offset:244 ; 4-byte Folded Spill
	buffer_store_dword v238, off, s[52:55], 0 offset:32 ; 4-byte Folded Spill
	;; [unrolled: 1-line block ×4, first 2 shown]
	v_mul_f64 v[252:253], v[104:105], s[44:45]
	v_mov_b32_e32 v121, v168
	v_mov_b32_e32 v168, v250
	v_add_f64 v[189:190], v[86:87], v[189:190]
	v_mul_f64 v[249:250], v[191:192], s[46:47]
	v_mov_b32_e32 v120, v237
	v_fma_f64 v[237:238], v[205:206], s[28:29], v[231:232]
	v_add_f64 v[102:103], v[102:103], v[189:190]
	v_fma_f64 v[223:224], v[199:200], s[20:21], v[249:250]
	v_add_f64 v[98:99], v[98:99], v[102:103]
	v_mul_f64 v[102:103], v[197:198], s[48:49]
	v_add_f64 v[90:91], v[90:91], v[98:99]
	v_mul_f64 v[98:99], v[201:202], s[30:31]
	v_fma_f64 v[189:190], v[213:214], s[22:23], v[102:103]
	v_add_f64 v[225:226], v[88:89], v[90:91]
	v_fma_f64 v[90:91], v[193:194], s[34:35], v[252:253]
	v_fma_f64 v[88:89], v[219:220], s[26:27], v[98:99]
	v_add_f64 v[90:91], v[84:85], v[90:91]
	v_add_f64 v[90:91], v[223:224], v[90:91]
	;; [unrolled: 1-line block ×3, first 2 shown]
	v_mul_f64 v[237:238], v[195:196], s[24:25]
	v_add_f64 v[90:91], v[189:190], v[90:91]
	v_mul_f64 v[189:190], v[203:204], s[26:27]
	v_mul_f64 v[203:204], v[203:204], s[34:35]
	v_add_f64 v[223:224], v[88:89], v[90:91]
	v_fma_f64 v[88:89], v[247:248], s[30:31], v[92:93]
	v_fma_f64 v[92:93], v[243:244], s[36:37], v[96:97]
	;; [unrolled: 1-line block ×5, first 2 shown]
	v_mul_f64 v[227:228], v[106:107], s[28:29]
	buffer_store_dword v223, off, s[52:55], 0 offset:48 ; 4-byte Folded Spill
	s_nop 0
	buffer_store_dword v224, off, s[52:55], 0 offset:52 ; 4-byte Folded Spill
	buffer_store_dword v225, off, s[52:55], 0 offset:56 ; 4-byte Folded Spill
	buffer_store_dword v226, off, s[52:55], 0 offset:60 ; 4-byte Folded Spill
	v_fma_f64 v[223:224], v[241:242], s[30:31], v[189:190]
	v_mul_f64 v[100:101], v[209:210], s[34:35]
	v_add_f64 v[96:97], v[86:87], v[96:97]
	v_add_f64 v[94:95], v[94:95], v[96:97]
	v_fma_f64 v[96:97], v[199:200], s[20:21], -v[249:250]
	v_fma_f64 v[249:250], v[205:206], s[20:21], v[237:238]
	v_add_f64 v[92:93], v[92:93], v[94:95]
	v_add_f64 v[90:91], v[90:91], v[92:93]
	v_fma_f64 v[92:93], v[205:206], s[28:29], -v[231:232]
	v_fma_f64 v[231:232], v[235:236], s[50:51], v[227:228]
	v_add_f64 v[94:95], v[88:89], v[90:91]
	v_fma_f64 v[88:89], v[219:220], s[26:27], -v[98:99]
	v_fma_f64 v[98:99], v[193:194], s[34:35], -v[252:253]
	v_fma_f64 v[90:91], v[213:214], s[22:23], -v[102:103]
	v_mul_f64 v[102:103], v[207:208], s[20:21]
	v_add_f64 v[231:232], v[86:87], v[231:232]
	v_mul_f64 v[252:253], v[191:192], s[42:43]
	v_mul_f64 v[191:192], v[191:192], s[38:39]
	v_add_f64 v[98:99], v[84:85], v[98:99]
	v_add_f64 v[223:224], v[223:224], v[231:232]
	v_fma_f64 v[225:226], v[199:200], s[26:27], v[252:253]
	v_add_f64 v[96:97], v[96:97], v[98:99]
	v_fma_f64 v[98:99], v[243:244], s[46:47], v[102:103]
	;; [unrolled: 2-line block ×3, first 2 shown]
	v_add_f64 v[98:99], v[98:99], v[223:224]
	v_mul_f64 v[223:224], v[197:198], s[44:45]
	v_add_f64 v[90:91], v[90:91], v[92:93]
	v_add_f64 v[96:97], v[96:97], v[98:99]
	v_fma_f64 v[231:232], v[213:214], s[34:35], v[223:224]
	v_add_f64 v[92:93], v[88:89], v[90:91]
	buffer_store_dword v92, off, s[52:55], 0 offset:64 ; 4-byte Folded Spill
	s_nop 0
	buffer_store_dword v93, off, s[52:55], 0 offset:68 ; 4-byte Folded Spill
	buffer_store_dword v94, off, s[52:55], 0 offset:72 ; 4-byte Folded Spill
	;; [unrolled: 1-line block ×4, first 2 shown]
	s_nop 0
	buffer_store_dword v119, off, s[52:55], 0 offset:252 ; 4-byte Folded Spill
	v_mul_f64 v[118:119], v[104:105], s[36:37]
	v_mul_f64 v[88:89], v[211:212], s[22:23]
	v_fma_f64 v[94:95], v[243:244], s[24:25], v[102:103]
	v_fma_f64 v[102:103], v[235:236], s[36:37], v[227:228]
	;; [unrolled: 1-line block ×5, first 2 shown]
	v_add_f64 v[102:103], v[86:87], v[102:103]
	v_add_f64 v[92:93], v[84:85], v[92:93]
	;; [unrolled: 1-line block ×3, first 2 shown]
	v_mul_f64 v[90:91], v[201:202], s[48:49]
	v_add_f64 v[92:93], v[225:226], v[92:93]
	v_fma_f64 v[96:97], v[219:220], s[22:23], v[90:91]
	v_add_f64 v[92:93], v[249:250], v[92:93]
	v_mov_b32_e32 v250, v168
	v_mov_b32_e32 v168, v121
	;; [unrolled: 1-line block ×4, first 2 shown]
	v_add_f64 v[92:93], v[231:232], v[92:93]
	v_and_b32_e32 v232, 15, v217
	v_add_f64 v[96:97], v[96:97], v[92:93]
	v_fma_f64 v[92:93], v[245:246], s[44:45], v[100:101]
	v_fma_f64 v[100:101], v[241:242], s[42:43], v[189:190]
	v_add_f64 v[100:101], v[100:101], v[102:103]
	v_add_f64 v[94:95], v[94:95], v[100:101]
	v_fma_f64 v[100:101], v[193:194], s[28:29], -v[118:119]
	v_mul_f64 v[118:119], v[207:208], s[22:23]
	v_fma_f64 v[207:208], v[241:242], s[44:45], v[203:204]
	v_add_f64 v[92:93], v[92:93], v[94:95]
	v_fma_f64 v[94:95], v[199:200], s[26:27], -v[252:253]
	v_add_f64 v[100:101], v[84:85], v[100:101]
	v_fma_f64 v[189:190], v[243:244], s[40:41], v[118:119]
	v_add_f64 v[102:103], v[88:89], v[92:93]
	v_fma_f64 v[92:93], v[205:206], s[20:21], -v[237:238]
	v_add_f64 v[94:95], v[94:95], v[100:101]
	v_fma_f64 v[88:89], v[219:220], s[22:23], -v[90:91]
	v_fma_f64 v[90:91], v[213:214], s[34:35], -v[223:224]
	buffer_load_dword v238, off, s[52:55], 0 offset:32 ; 4-byte Folded Reload
	buffer_load_dword v253, off, s[52:55], 0 offset:40 ; 4-byte Folded Reload
	buffer_load_dword v252, off, s[52:55], 0 offset:36 ; 4-byte Folded Reload
	v_mov_b32_e32 v237, v120
	v_add_f64 v[92:93], v[92:93], v[94:95]
	v_add_f64 v[90:91], v[90:91], v[92:93]
	v_mul_f64 v[92:93], v[209:210], s[20:21]
	v_mul_f64 v[209:210], v[106:107], s[26:27]
	v_add_f64 v[100:101], v[88:89], v[90:91]
	v_mul_f64 v[88:89], v[211:212], s[28:29]
	v_fma_f64 v[106:107], v[235:236], s[42:43], v[209:210]
	v_fma_f64 v[94:95], v[245:246], s[46:47], v[92:93]
	v_mul_f64 v[211:212], v[104:105], s[30:31]
	v_fma_f64 v[92:93], v[245:246], s[24:25], v[92:93]
	v_fma_f64 v[90:91], v[247:248], s[50:51], v[88:89]
	v_add_f64 v[106:107], v[86:87], v[106:107]
	v_fma_f64 v[88:89], v[247:248], s[36:37], v[88:89]
	v_fma_f64 v[104:105], v[193:194], s[26:27], v[211:212]
	v_add_f64 v[106:107], v[207:208], v[106:107]
	v_fma_f64 v[207:208], v[199:200], s[34:35], v[191:192]
	v_add_f64 v[104:105], v[84:85], v[104:105]
	v_add_f64 v[106:107], v[189:190], v[106:107]
	v_mul_f64 v[189:190], v[197:198], s[24:25]
	v_add_f64 v[104:105], v[207:208], v[104:105]
	v_add_f64 v[94:95], v[94:95], v[106:107]
	v_fma_f64 v[197:198], v[213:214], s[20:21], v[189:190]
	v_add_f64 v[106:107], v[90:91], v[94:95]
	v_mul_f64 v[90:91], v[201:202], s[36:37]
	v_mul_f64 v[201:202], v[195:196], s[48:49]
	v_fma_f64 v[94:95], v[219:220], s[28:29], v[90:91]
	v_fma_f64 v[195:196], v[205:206], s[22:23], v[201:202]
	v_add_f64 v[104:105], v[195:196], v[104:105]
	v_fma_f64 v[195:196], v[235:236], s[30:31], v[209:210]
	v_add_f64 v[104:105], v[197:198], v[104:105]
	v_add_f64 v[195:196], v[86:87], v[195:196]
	;; [unrolled: 1-line block ×3, first 2 shown]
	v_fma_f64 v[94:95], v[243:244], s[48:49], v[118:119]
	v_fma_f64 v[118:119], v[241:242], s[38:39], v[203:204]
	v_add_f64 v[118:119], v[118:119], v[195:196]
	v_add_f64 v[94:95], v[94:95], v[118:119]
	v_fma_f64 v[118:119], v[193:194], s[26:27], -v[211:212]
	v_add_f64 v[92:93], v[92:93], v[94:95]
	v_fma_f64 v[94:95], v[199:200], s[34:35], -v[191:192]
	v_add_f64 v[118:119], v[84:85], v[118:119]
	v_add_f64 v[195:196], v[88:89], v[92:93]
	v_fma_f64 v[92:93], v[205:206], s[22:23], -v[201:202]
	v_add_f64 v[94:95], v[94:95], v[118:119]
	v_fma_f64 v[88:89], v[219:220], s[28:29], -v[90:91]
	v_fma_f64 v[90:91], v[213:214], s[20:21], -v[189:190]
	buffer_load_dword v189, off, s[52:55], 0 offset:44 ; 4-byte Folded Reload
	v_lshlrev_b32_e32 v190, 1, v217
	v_add_f64 v[92:93], v[92:93], v[94:95]
	v_add_f64 v[90:91], v[90:91], v[92:93]
	v_add_f64 v[193:194], v[88:89], v[90:91]
	buffer_load_dword v88, off, s[52:55], 0 offset:232 ; 4-byte Folded Reload
	buffer_load_dword v89, off, s[52:55], 0 offset:236 ; 4-byte Folded Reload
	;; [unrolled: 1-line block ×10, first 2 shown]
	s_waitcnt vmcnt(8)
	v_add_f64 v[88:89], v[239:240], v[88:89]
	s_waitcnt vmcnt(6)
	v_add_f64 v[90:91], v[233:234], v[90:91]
	;; [unrolled: 2-line block ×5, first 2 shown]
	v_add_f64 v[118:119], v[86:87], v[118:119]
	v_add_f64 v[94:95], v[94:95], v[118:119]
	;; [unrolled: 1-line block ×5, first 2 shown]
	buffer_load_dword v88, off, s[52:55], 0 offset:200 ; 4-byte Folded Reload
	buffer_load_dword v89, off, s[52:55], 0 offset:204 ; 4-byte Folded Reload
	;; [unrolled: 1-line block ×10, first 2 shown]
	s_waitcnt vmcnt(8)
	v_add_f64 v[88:89], v[88:89], -v[187:188]
	s_waitcnt vmcnt(6)
	v_add_f64 v[90:91], v[90:91], -v[183:184]
	s_waitcnt vmcnt(4)
	v_add_f64 v[92:93], v[92:93], -v[181:182]
	s_waitcnt vmcnt(2)
	v_add_f64 v[94:95], v[94:95], -v[179:180]
	s_waitcnt vmcnt(0)
	v_add_f64 v[118:119], v[118:119], -v[177:178]
	v_add_f64 v[118:119], v[84:85], v[118:119]
	v_add_f64 v[94:95], v[94:95], v[118:119]
	;; [unrolled: 1-line block ×5, first 2 shown]
	buffer_load_dword v88, off, s[52:55], 0 offset:168 ; 4-byte Folded Reload
	buffer_load_dword v89, off, s[52:55], 0 offset:172 ; 4-byte Folded Reload
	;; [unrolled: 1-line block ×10, first 2 shown]
	s_waitcnt vmcnt(8)
	v_add_f64 v[88:89], v[175:176], v[88:89]
	s_waitcnt vmcnt(6)
	v_add_f64 v[90:91], v[173:174], v[90:91]
	;; [unrolled: 2-line block ×5, first 2 shown]
	v_add_f64 v[118:119], v[86:87], v[118:119]
	v_add_f64 v[86:87], v[86:87], v[150:151]
	;; [unrolled: 1-line block ×9, first 2 shown]
	buffer_load_dword v88, off, s[52:55], 0 offset:128 ; 4-byte Folded Reload
	buffer_load_dword v89, off, s[52:55], 0 offset:132 ; 4-byte Folded Reload
	;; [unrolled: 1-line block ×10, first 2 shown]
	v_add_f64 v[86:87], v[86:87], v[158:159]
	v_add_f64 v[86:87], v[86:87], v[160:161]
	;; [unrolled: 1-line block ×6, first 2 shown]
	s_waitcnt vmcnt(8)
	v_add_f64 v[88:89], v[88:89], -v[166:167]
	s_waitcnt vmcnt(6)
	v_add_f64 v[90:91], v[90:91], -v[162:163]
	;; [unrolled: 2-line block ×4, first 2 shown]
	buffer_load_dword v118, off, s[52:55], 0 offset:80 ; 4-byte Folded Reload
	buffer_load_dword v119, off, s[52:55], 0 offset:84 ; 4-byte Folded Reload
	;; [unrolled: 1-line block ×4, first 2 shown]
	s_waitcnt vmcnt(0)
	v_add_f64 v[118:119], v[118:119], -v[120:121]
	v_add_f64 v[118:119], v[84:85], v[118:119]
	v_add_f64 v[84:85], v[84:85], v[144:145]
	;; [unrolled: 1-line block ×10, first 2 shown]
	v_mul_u32_u24_e32 v88, 0xb0, v254
	v_or_b32_e32 v88, v88, v232
	v_lshlrev_b32_e32 v88, 4, v88
	v_add_f64 v[84:85], v[84:85], v[134:135]
	v_add_f64 v[84:85], v[84:85], v[112:113]
	;; [unrolled: 1-line block ×5, first 2 shown]
	ds_write_b128 v88, v[84:87]
	ds_write_b128 v88, v[162:165] offset:256
	ds_write_b128 v88, v[183:186] offset:512
	;; [unrolled: 1-line block ×4, first 2 shown]
	buffer_load_dword v84, off, s[52:55], 0 offset:64 ; 4-byte Folded Reload
	buffer_load_dword v85, off, s[52:55], 0 offset:68 ; 4-byte Folded Reload
	;; [unrolled: 1-line block ×4, first 2 shown]
	s_waitcnt vmcnt(0)
	ds_write_b128 v88, v[84:87] offset:1280
	buffer_load_dword v84, off, s[52:55], 0 offset:48 ; 4-byte Folded Reload
	buffer_load_dword v85, off, s[52:55], 0 offset:52 ; 4-byte Folded Reload
	;; [unrolled: 1-line block ×4, first 2 shown]
	s_waitcnt vmcnt(0)
	ds_write_b128 v88, v[84:87] offset:1536
	ds_write_b128 v88, v[96:99] offset:1792
	ds_write_b128 v88, v[104:107] offset:2048
	ds_write_b128 v88, v[124:127] offset:2304
	ds_write_b128 v88, v[128:131] offset:2560
.LBB0_19:
	s_or_b64 exec, exec, s[18:19]
	v_lshlrev_b32_e32 v144, 4, v190
	s_waitcnt lgkmcnt(0)
	s_barrier
	v_mov_b32_e32 v176, s15
	global_load_dwordx4 v[84:87], v144, s[14:15] offset:2768
	global_load_dwordx4 v[88:91], v144, s[14:15] offset:2752
	s_mov_b32 s15, 0xba2f
	v_mul_u32_u24_sdwa v92, v251, s15 dst_sel:DWORD dst_unused:UNUSED_PAD src0_sel:WORD_0 src1_sel:DWORD
	v_lshrrev_b32_e32 v92, 23, v92
	v_mul_lo_u16_e32 v92, 0xb0, v92
	v_sub_u16_e32 v148, v251, v92
	v_lshlrev_b16_e32 v92, 5, v148
	v_add_co_u32_e32 v92, vcc, s14, v92
	v_addc_co_u32_e32 v93, vcc, 0, v176, vcc
	global_load_dwordx4 v[96:99], v[92:93], off offset:2752
	s_nop 0
	global_load_dwordx4 v[92:95], v[92:93], off offset:2768
	ds_read_b128 v[100:103], v255
	ds_read_b128 v[104:107], v255 offset:2816
	ds_read_b128 v[108:111], v255 offset:16896
	;; [unrolled: 1-line block ×8, first 2 shown]
	v_lshlrev_b32_e32 v169, 4, v148
	s_mov_b32 s18, 0xe8584caa
	s_mov_b32 s19, 0x3febb67a
	;; [unrolled: 1-line block ×4, first 2 shown]
	v_add_co_u32_e32 v146, vcc, s14, v144
	s_movk_i32 s16, 0x20c0
	v_addc_co_u32_e32 v147, vcc, 0, v176, vcc
	v_add_co_u32_e32 v144, vcc, s16, v146
	s_movk_i32 s15, 0x2000
	v_addc_co_u32_e32 v145, vcc, 0, v147, vcc
	s_waitcnt vmcnt(0) lgkmcnt(0)
	s_barrier
	v_add_co_u32_e32 v146, vcc, s15, v146
	v_addc_co_u32_e32 v147, vcc, 0, v147, vcc
	v_mul_f64 v[152:153], v[110:111], v[86:87]
	v_mul_f64 v[148:149], v[118:119], v[90:91]
	;; [unrolled: 1-line block ×8, first 2 shown]
	v_fma_f64 v[108:109], v[108:109], v[84:85], -v[152:153]
	v_fma_f64 v[116:117], v[116:117], v[88:89], -v[148:149]
	v_fma_f64 v[118:119], v[118:119], v[88:89], v[150:151]
	v_mul_f64 v[164:165], v[138:139], v[98:99]
	v_mul_f64 v[166:167], v[136:137], v[98:99]
	;; [unrolled: 1-line block ×4, first 2 shown]
	v_fma_f64 v[110:111], v[110:111], v[84:85], v[154:155]
	v_fma_f64 v[132:133], v[132:133], v[88:89], -v[156:157]
	v_fma_f64 v[134:135], v[134:135], v[88:89], v[158:159]
	v_fma_f64 v[112:113], v[112:113], v[84:85], -v[160:161]
	;; [unrolled: 2-line block ×4, first 2 shown]
	v_fma_f64 v[142:143], v[142:143], v[92:93], v[172:173]
	v_add_f64 v[150:151], v[116:117], v[108:109]
	v_add_f64 v[152:153], v[118:119], -v[110:111]
	v_add_f64 v[154:155], v[102:103], v[118:119]
	v_add_f64 v[118:119], v[118:119], v[110:111]
	;; [unrolled: 1-line block ×4, first 2 shown]
	v_add_f64 v[160:161], v[134:135], -v[114:115]
	v_add_f64 v[162:163], v[106:107], v[134:135]
	v_add_f64 v[134:135], v[134:135], v[114:115]
	v_add_f64 v[156:157], v[116:117], -v[108:109]
	v_add_f64 v[116:117], v[104:105], v[132:133]
	v_add_f64 v[164:165], v[132:133], -v[112:113]
	v_add_f64 v[132:133], v[120:121], v[136:137]
	v_add_f64 v[166:167], v[136:137], v[140:141]
	v_add_f64 v[170:171], v[138:139], -v[142:143]
	v_add_f64 v[172:173], v[122:123], v[138:139]
	v_add_f64 v[138:139], v[138:139], v[142:143]
	v_add_f64 v[174:175], v[136:137], -v[140:141]
	v_fma_f64 v[136:137], v[150:151], -0.5, v[100:101]
	v_fma_f64 v[118:119], v[118:119], -0.5, v[102:103]
	v_add_f64 v[108:109], v[148:149], v[108:109]
	v_fma_f64 v[148:149], v[158:159], -0.5, v[104:105]
	v_fma_f64 v[134:135], v[134:135], -0.5, v[106:107]
	v_add_f64 v[110:111], v[154:155], v[110:111]
	v_add_f64 v[104:105], v[132:133], v[140:141]
	v_fma_f64 v[140:141], v[166:167], -0.5, v[120:121]
	v_fma_f64 v[138:139], v[138:139], -0.5, v[122:123]
	v_add_f64 v[100:101], v[116:117], v[112:113]
	v_add_f64 v[102:103], v[162:163], v[114:115]
	v_fma_f64 v[112:113], v[152:153], s[18:19], v[136:137]
	v_fma_f64 v[114:115], v[156:157], s[20:21], v[118:119]
	;; [unrolled: 1-line block ×8, first 2 shown]
	v_add_f64 v[106:107], v[172:173], v[142:143]
	ds_write_b128 v255, v[108:111]
	v_fma_f64 v[108:109], v[170:171], s[18:19], v[140:141]
	v_fma_f64 v[110:111], v[174:175], s[20:21], v[138:139]
	v_fma_f64 v[136:137], v[170:171], s[20:21], v[140:141]
	v_fma_f64 v[138:139], v[174:175], s[18:19], v[138:139]
	ds_write_b128 v255, v[100:103] offset:8448
	ds_write_b128 v255, v[112:115] offset:2816
	;; [unrolled: 1-line block ×8, first 2 shown]
	v_lshlrev_b32_e32 v108, 4, v189
	v_add_co_u32_e32 v110, vcc, s14, v108
	v_addc_co_u32_e32 v111, vcc, 0, v176, vcc
	v_add_co_u32_e32 v108, vcc, s16, v110
	v_addc_co_u32_e32 v109, vcc, 0, v111, vcc
	;; [unrolled: 2-line block ×3, first 2 shown]
	v_lshlrev_b32_e32 v112, 5, v251
	v_add_co_u32_e32 v114, vcc, s14, v112
	v_addc_co_u32_e32 v115, vcc, 0, v176, vcc
	s_waitcnt lgkmcnt(0)
	s_barrier
	global_load_dwordx4 v[104:107], v[146:147], off offset:192
	global_load_dwordx4 v[100:103], v[144:145], off offset:16
	v_add_co_u32_e32 v112, vcc, s15, v114
	v_addc_co_u32_e32 v113, vcc, 0, v115, vcc
	global_load_dwordx4 v[116:119], v[110:111], off offset:192
	s_nop 0
	global_load_dwordx4 v[108:111], v[108:109], off offset:16
	v_mov_b32_e32 v132, s17
	global_load_dwordx4 v[120:123], v[112:113], off offset:192
	v_add_co_u32_e32 v112, vcc, s16, v114
	v_addc_co_u32_e32 v113, vcc, 0, v115, vcc
	global_load_dwordx4 v[112:115], v[112:113], off offset:16
	v_addc_co_u32_e64 v196, vcc, 0, v132, s[6:7]
	ds_read_b128 v[132:135], v255
	ds_read_b128 v[136:139], v255 offset:2816
	ds_read_b128 v[140:143], v255 offset:16896
	;; [unrolled: 1-line block ×8, first 2 shown]
	s_movk_i32 s6, 0x6300
	s_movk_i32 s14, 0x6000
	s_waitcnt vmcnt(5) lgkmcnt(4)
	v_mul_f64 v[170:171], v[150:151], v[106:107]
	v_mul_f64 v[172:173], v[148:149], v[106:107]
	s_waitcnt vmcnt(4)
	v_mul_f64 v[174:175], v[142:143], v[102:103]
	v_mul_f64 v[176:177], v[140:141], v[102:103]
	s_waitcnt vmcnt(3) lgkmcnt(2)
	v_mul_f64 v[178:179], v[158:159], v[118:119]
	v_mul_f64 v[180:181], v[156:157], v[118:119]
	s_waitcnt vmcnt(2)
	v_mul_f64 v[182:183], v[146:147], v[110:111]
	v_mul_f64 v[184:185], v[144:145], v[110:111]
	s_waitcnt vmcnt(1) lgkmcnt(1)
	v_mul_f64 v[186:187], v[162:163], v[122:123]
	v_mul_f64 v[188:189], v[160:161], v[122:123]
	v_fma_f64 v[148:149], v[148:149], v[104:105], -v[170:171]
	v_fma_f64 v[150:151], v[150:151], v[104:105], v[172:173]
	s_waitcnt vmcnt(0) lgkmcnt(0)
	v_mul_f64 v[190:191], v[166:167], v[114:115]
	v_mul_f64 v[192:193], v[164:165], v[114:115]
	v_fma_f64 v[140:141], v[140:141], v[100:101], -v[174:175]
	v_fma_f64 v[142:143], v[142:143], v[100:101], v[176:177]
	v_fma_f64 v[156:157], v[156:157], v[116:117], -v[178:179]
	v_fma_f64 v[158:159], v[158:159], v[116:117], v[180:181]
	;; [unrolled: 2-line block ×5, first 2 shown]
	v_add_f64 v[172:173], v[148:149], v[140:141]
	v_add_f64 v[174:175], v[150:151], -v[142:143]
	v_add_f64 v[176:177], v[134:135], v[150:151]
	v_add_f64 v[150:151], v[150:151], v[142:143]
	;; [unrolled: 1-line block ×4, first 2 shown]
	v_add_f64 v[182:183], v[158:159], -v[146:147]
	v_add_f64 v[184:185], v[138:139], v[158:159]
	v_add_f64 v[158:159], v[158:159], v[146:147]
	;; [unrolled: 1-line block ×3, first 2 shown]
	v_add_f64 v[190:191], v[162:163], -v[166:167]
	v_add_f64 v[192:193], v[154:155], v[162:163]
	v_add_f64 v[162:163], v[162:163], v[166:167]
	v_add_f64 v[178:179], v[148:149], -v[140:141]
	v_add_f64 v[148:149], v[136:137], v[156:157]
	v_add_f64 v[186:187], v[156:157], -v[144:145]
	v_add_f64 v[156:157], v[152:153], v[160:161]
	v_fma_f64 v[132:133], v[172:173], -0.5, v[132:133]
	v_fma_f64 v[134:135], v[150:151], -0.5, v[134:135]
	v_add_f64 v[194:195], v[160:161], -v[164:165]
	v_add_f64 v[140:141], v[170:171], v[140:141]
	v_fma_f64 v[160:161], v[180:181], -0.5, v[136:137]
	v_fma_f64 v[170:171], v[158:159], -0.5, v[138:139]
	v_add_f64 v[142:143], v[176:177], v[142:143]
	v_fma_f64 v[172:173], v[188:189], -0.5, v[152:153]
	v_fma_f64 v[176:177], v[162:163], -0.5, v[154:155]
	v_add_f64 v[144:145], v[148:149], v[144:145]
	v_add_f64 v[146:147], v[184:185], v[146:147]
	;; [unrolled: 1-line block ×4, first 2 shown]
	v_fma_f64 v[148:149], v[174:175], s[18:19], v[132:133]
	v_fma_f64 v[150:151], v[178:179], s[20:21], v[134:135]
	;; [unrolled: 1-line block ×12, first 2 shown]
	ds_write_b128 v255, v[140:143]
	ds_write_b128 v255, v[144:147] offset:2816
	ds_write_b128 v255, v[136:139] offset:5632
	;; [unrolled: 1-line block ×8, first 2 shown]
	v_add_co_u32_e32 v136, vcc, s6, v215
	v_addc_co_u32_e32 v137, vcc, 0, v196, vcc
	v_add_co_u32_e32 v146, vcc, s14, v215
	v_addc_co_u32_e32 v147, vcc, 0, v196, vcc
	s_movk_i32 s6, 0x7000
	v_add_co_u32_e32 v138, vcc, s6, v215
	v_addc_co_u32_e32 v139, vcc, 0, v196, vcc
	s_mov_b32 s6, 0x9000
	v_add_co_u32_e32 v162, vcc, s6, v215
	v_addc_co_u32_e32 v163, vcc, 0, v196, vcc
	s_mov_b32 s6, 0xa000
	s_waitcnt lgkmcnt(0)
	s_barrier
	global_load_dwordx4 v[138:141], v[138:139], off offset:3008
	s_nop 0
	global_load_dwordx4 v[142:145], v[162:163], off offset:1152
	v_add_co_u32_e32 v154, vcc, s6, v215
	global_load_dwordx4 v[146:149], v[146:147], off offset:768
	s_nop 0
	global_load_dwordx4 v[150:153], v[136:137], off offset:2816
	v_addc_co_u32_e32 v155, vcc, 0, v196, vcc
	s_mov_b32 s6, 0x8000
	v_add_co_u32_e32 v158, vcc, s6, v215
	v_addc_co_u32_e32 v159, vcc, 0, v196, vcc
	s_mov_b32 s6, 0xb000
	global_load_dwordx4 v[154:157], v[154:155], off offset:3392
	s_nop 0
	global_load_dwordx4 v[158:161], v[158:159], off offset:1728
	s_nop 0
	global_load_dwordx4 v[162:165], v[162:163], off offset:3968
	v_add_co_u32_e32 v166, vcc, s6, v215
	v_addc_co_u32_e32 v167, vcc, 0, v196, vcc
	global_load_dwordx4 v[170:173], v[166:167], off offset:2112
	ds_read_b128 v[174:177], v255
	ds_read_b128 v[178:181], v255 offset:2816
	ds_read_b128 v[182:185], v255 offset:6336
	;; [unrolled: 1-line block ×7, first 2 shown]
	s_waitcnt vmcnt(7) lgkmcnt(5)
	v_mul_f64 v[206:207], v[184:185], v[140:141]
	v_mul_f64 v[140:141], v[182:183], v[140:141]
	s_waitcnt vmcnt(6) lgkmcnt(3)
	v_mul_f64 v[208:209], v[192:193], v[144:145]
	s_waitcnt vmcnt(5)
	v_mul_f64 v[166:167], v[176:177], v[148:149]
	v_mul_f64 v[148:149], v[174:175], v[148:149]
	;; [unrolled: 1-line block ×3, first 2 shown]
	s_waitcnt vmcnt(4)
	v_mul_f64 v[218:219], v[180:181], v[152:153]
	v_mul_f64 v[220:221], v[178:179], v[152:153]
	s_waitcnt vmcnt(3) lgkmcnt(1)
	v_mul_f64 v[212:213], v[200:201], v[156:157]
	v_mul_f64 v[156:157], v[198:199], v[156:157]
	s_waitcnt vmcnt(2)
	v_mul_f64 v[222:223], v[188:189], v[160:161]
	v_mul_f64 v[160:161], v[186:187], v[160:161]
	s_waitcnt vmcnt(1)
	v_mul_f64 v[224:225], v[196:197], v[164:165]
	v_mul_f64 v[226:227], v[194:195], v[164:165]
	v_fma_f64 v[144:145], v[174:175], v[146:147], -v[166:167]
	s_waitcnt vmcnt(0) lgkmcnt(0)
	v_mul_f64 v[228:229], v[204:205], v[172:173]
	v_mul_f64 v[230:231], v[202:203], v[172:173]
	v_fma_f64 v[146:147], v[176:177], v[146:147], v[148:149]
	v_fma_f64 v[164:165], v[182:183], v[138:139], -v[206:207]
	v_fma_f64 v[166:167], v[184:185], v[138:139], v[140:141]
	v_fma_f64 v[138:139], v[190:191], v[142:143], -v[208:209]
	;; [unrolled: 2-line block ×7, first 2 shown]
	v_fma_f64 v[174:175], v[204:205], v[170:171], v[230:231]
	ds_write_b128 v255, v[144:147]
	ds_write_b128 v255, v[164:167] offset:6336
	ds_write_b128 v255, v[138:141] offset:12672
	;; [unrolled: 1-line block ×7, first 2 shown]
	s_and_saveexec_b64 s[6:7], s[0:1]
	s_cbranch_execz .LBB0_21
; %bb.20:
	v_add_co_u32_e32 v138, vcc, 0x1000, v136
	v_addc_co_u32_e32 v139, vcc, 0, v137, vcc
	v_add_co_u32_e32 v142, vcc, s15, v136
	v_addc_co_u32_e32 v143, vcc, 0, v137, vcc
	s_movk_i32 s15, 0x4000
	v_add_co_u32_e32 v146, vcc, s15, v136
	v_addc_co_u32_e32 v147, vcc, 0, v137, vcc
	global_load_dwordx4 v[138:141], v[138:139], off offset:1536
	s_nop 0
	global_load_dwordx4 v[142:145], v[142:143], off offset:3776
	v_add_co_u32_e32 v136, vcc, s14, v136
	global_load_dwordx4 v[146:149], v[146:147], off offset:1920
	v_addc_co_u32_e32 v137, vcc, 0, v137, vcc
	global_load_dwordx4 v[150:153], v[136:137], off offset:64
	ds_read_b128 v[154:157], v255 offset:5632
	ds_read_b128 v[158:161], v255 offset:11968
	;; [unrolled: 1-line block ×4, first 2 shown]
	s_waitcnt vmcnt(3) lgkmcnt(3)
	v_mul_f64 v[136:137], v[156:157], v[140:141]
	v_mul_f64 v[140:141], v[154:155], v[140:141]
	s_waitcnt vmcnt(2) lgkmcnt(2)
	v_mul_f64 v[166:167], v[160:161], v[144:145]
	v_mul_f64 v[144:145], v[158:159], v[144:145]
	s_waitcnt vmcnt(1) lgkmcnt(1)
	v_mul_f64 v[174:175], v[164:165], v[148:149]
	v_mul_f64 v[148:149], v[162:163], v[148:149]
	s_waitcnt vmcnt(0) lgkmcnt(0)
	v_mul_f64 v[176:177], v[172:173], v[152:153]
	v_mul_f64 v[152:153], v[170:171], v[152:153]
	v_fma_f64 v[136:137], v[154:155], v[138:139], -v[136:137]
	v_fma_f64 v[138:139], v[156:157], v[138:139], v[140:141]
	v_fma_f64 v[140:141], v[158:159], v[142:143], -v[166:167]
	v_fma_f64 v[142:143], v[160:161], v[142:143], v[144:145]
	;; [unrolled: 2-line block ×4, first 2 shown]
	ds_write_b128 v255, v[136:139] offset:5632
	ds_write_b128 v255, v[140:143] offset:11968
	;; [unrolled: 1-line block ×4, first 2 shown]
.LBB0_21:
	s_or_b64 exec, exec, s[6:7]
	s_waitcnt lgkmcnt(0)
	s_barrier
	ds_read_b128 v[144:147], v255
	ds_read_b128 v[140:143], v255 offset:2816
	ds_read_b128 v[148:151], v255 offset:6336
	;; [unrolled: 1-line block ×7, first 2 shown]
	s_and_saveexec_b64 s[6:7], s[0:1]
	s_cbranch_execz .LBB0_23
; %bb.22:
	ds_read_b128 v[132:135], v255 offset:5632
	ds_read_b128 v[124:127], v255 offset:11968
	;; [unrolled: 1-line block ×4, first 2 shown]
.LBB0_23:
	s_or_b64 exec, exec, s[6:7]
	s_waitcnt lgkmcnt(3)
	v_add_f64 v[166:167], v[146:147], -v[166:167]
	s_waitcnt lgkmcnt(1)
	v_add_f64 v[162:163], v[150:151], -v[162:163]
	v_add_f64 v[164:165], v[144:145], -v[164:165]
	;; [unrolled: 1-line block ×5, first 2 shown]
	s_waitcnt lgkmcnt(0)
	v_add_f64 v[158:159], v[136:137], -v[152:153]
	v_add_f64 v[176:177], v[138:139], -v[154:155]
	v_fma_f64 v[172:173], v[146:147], 2.0, -v[166:167]
	v_fma_f64 v[146:147], v[150:151], 2.0, -v[162:163]
	v_add_f64 v[128:129], v[132:133], -v[128:129]
	v_add_f64 v[130:131], v[134:135], -v[130:131]
	v_add_f64 v[178:179], v[124:125], -v[40:41]
	v_add_f64 v[180:181], v[126:127], -v[42:43]
	v_fma_f64 v[156:157], v[144:145], 2.0, -v[164:165]
	v_fma_f64 v[144:145], v[148:149], 2.0, -v[160:161]
	v_add_f64 v[148:149], v[164:165], v[162:163]
	v_add_f64 v[146:147], v[172:173], -v[146:147]
	v_add_f64 v[150:151], v[166:167], -v[160:161]
	v_fma_f64 v[160:161], v[140:141], 2.0, -v[170:171]
	v_fma_f64 v[162:163], v[142:143], 2.0, -v[174:175]
	;; [unrolled: 1-line block ×9, first 2 shown]
	v_add_f64 v[144:145], v[156:157], -v[144:145]
	v_add_f64 v[152:153], v[160:161], -v[40:41]
	;; [unrolled: 1-line block ×3, first 2 shown]
	v_add_f64 v[132:133], v[128:129], v[180:181]
	v_add_f64 v[134:135], v[130:131], -v[178:179]
	v_add_f64 v[158:159], v[174:175], -v[158:159]
	v_add_f64 v[40:41], v[172:173], -v[124:125]
	v_add_f64 v[42:43], v[182:183], -v[126:127]
	v_fma_f64 v[140:141], v[156:157], 2.0, -v[144:145]
	v_add_f64 v[156:157], v[170:171], v[176:177]
	v_fma_f64 v[136:137], v[164:165], 2.0, -v[148:149]
	v_fma_f64 v[128:129], v[128:129], 2.0, -v[132:133]
	;; [unrolled: 1-line block ×10, first 2 shown]
	s_barrier
	ds_write_b128 v252, v[140:143]
	ds_write_b128 v252, v[136:139] offset:16
	ds_write_b128 v252, v[144:147] offset:32
	;; [unrolled: 1-line block ×3, first 2 shown]
	ds_write_b128 v253, v[160:163]
	ds_write_b128 v253, v[164:167] offset:16
	ds_write_b128 v253, v[152:155] offset:32
	;; [unrolled: 1-line block ×3, first 2 shown]
	s_and_saveexec_b64 s[6:7], s[0:1]
	s_cbranch_execz .LBB0_25
; %bb.24:
	ds_write_b128 v168, v[124:127]
	ds_write_b128 v168, v[128:131] offset:16
	ds_write_b128 v168, v[40:43] offset:32
	;; [unrolled: 1-line block ×3, first 2 shown]
.LBB0_25:
	s_or_b64 exec, exec, s[6:7]
	s_waitcnt lgkmcnt(0)
	s_barrier
	ds_read_b128 v[144:147], v255
	ds_read_b128 v[132:135], v255 offset:2816
	ds_read_b128 v[160:163], v255 offset:12672
	;; [unrolled: 1-line block ×7, first 2 shown]
	s_and_saveexec_b64 s[6:7], s[2:3]
	s_cbranch_execz .LBB0_27
; %bb.26:
	ds_read_b128 v[124:127], v255 offset:11264
	ds_read_b128 v[128:131], v255 offset:23936
.LBB0_27:
	s_or_b64 exec, exec, s[6:7]
	s_waitcnt lgkmcnt(5)
	v_mul_f64 v[164:165], v[34:35], v[162:163]
	v_mul_f64 v[166:167], v[34:35], v[160:161]
	s_waitcnt lgkmcnt(4)
	v_mul_f64 v[172:173], v[34:35], v[156:157]
	v_mul_f64 v[170:171], v[34:35], v[158:159]
	;; [unrolled: 3-line block ×3, first 2 shown]
	s_waitcnt lgkmcnt(0)
	v_mul_f64 v[178:179], v[34:35], v[150:151]
	v_fma_f64 v[160:161], v[32:33], v[160:161], v[164:165]
	v_fma_f64 v[162:163], v[32:33], v[162:163], -v[166:167]
	v_mul_f64 v[164:165], v[34:35], v[148:149]
	v_mul_f64 v[166:167], v[34:35], v[130:131]
	v_mul_f64 v[34:35], v[34:35], v[128:129]
	v_fma_f64 v[172:173], v[32:33], v[158:159], -v[172:173]
	v_fma_f64 v[170:171], v[32:33], v[156:157], v[170:171]
	v_fma_f64 v[152:153], v[32:33], v[152:153], v[174:175]
	v_add_f64 v[156:157], v[144:145], -v[160:161]
	v_add_f64 v[158:159], v[146:147], -v[162:163]
	v_fma_f64 v[162:163], v[32:33], v[150:151], -v[164:165]
	v_fma_f64 v[164:165], v[32:33], v[128:129], v[166:167]
	v_fma_f64 v[154:155], v[32:33], v[154:155], -v[176:177]
	v_fma_f64 v[160:161], v[32:33], v[148:149], v[178:179]
	v_fma_f64 v[34:35], v[32:33], v[130:131], -v[34:35]
	s_barrier
	v_fma_f64 v[148:149], v[144:145], 2.0, -v[156:157]
	v_fma_f64 v[150:151], v[146:147], 2.0, -v[158:159]
	v_add_f64 v[32:33], v[124:125], -v[164:165]
	v_add_f64 v[128:129], v[132:133], -v[170:171]
	;; [unrolled: 1-line block ×8, first 2 shown]
	v_fma_f64 v[144:145], v[124:125], 2.0, -v[32:33]
	buffer_load_dword v124, off, s[52:55], 0 offset:12 ; 4-byte Folded Reload
	v_fma_f64 v[132:133], v[132:133], 2.0, -v[128:129]
	v_fma_f64 v[134:135], v[134:135], 2.0, -v[130:131]
	;; [unrolled: 1-line block ×7, first 2 shown]
	s_waitcnt vmcnt(0)
	ds_write_b128 v124, v[148:151]
	ds_write_b128 v124, v[156:159] offset:64
	buffer_load_dword v124, off, s[52:55], 0 offset:8 ; 4-byte Folded Reload
	s_waitcnt vmcnt(0)
	ds_write_b128 v124, v[132:135]
	ds_write_b128 v124, v[128:131] offset:64
	buffer_load_dword v124, off, s[52:55], 0 offset:4 ; 4-byte Folded Reload
	s_waitcnt vmcnt(0)
	ds_write_b128 v124, v[136:139]
	ds_write_b128 v124, v[152:155] offset:64
	buffer_load_dword v124, off, s[52:55], 0 ; 4-byte Folded Reload
	s_waitcnt vmcnt(0)
	ds_write_b128 v124, v[140:143]
	ds_write_b128 v124, v[160:163] offset:64
	s_and_saveexec_b64 s[6:7], s[2:3]
	s_cbranch_execz .LBB0_29
; %bb.28:
	s_movk_i32 s14, 0x7f8
	v_and_or_b32 v124, v238, s14, v249
	v_lshlrev_b32_e32 v124, 4, v124
	ds_write_b128 v124, v[144:147]
	ds_write_b128 v124, v[32:35] offset:64
.LBB0_29:
	s_or_b64 exec, exec, s[6:7]
	s_waitcnt lgkmcnt(0)
	s_barrier
	ds_read_b128 v[130:133], v255
	ds_read_b128 v[140:143], v255 offset:2816
	ds_read_b128 v[160:163], v255 offset:12672
	ds_read_b128 v[148:151], v255 offset:15488
	ds_read_b128 v[152:155], v255 offset:5632
	ds_read_b128 v[156:159], v255 offset:8448
	ds_read_b128 v[126:129], v255 offset:18304
	ds_read_b128 v[134:137], v255 offset:21120
	s_and_saveexec_b64 s[6:7], s[2:3]
	s_cbranch_execz .LBB0_31
; %bb.30:
	ds_read_b128 v[144:147], v255 offset:11264
	ds_read_b128 v[32:35], v255 offset:23936
.LBB0_31:
	s_or_b64 exec, exec, s[6:7]
	s_waitcnt lgkmcnt(5)
	v_mul_f64 v[124:125], v[38:39], v[162:163]
	v_mul_f64 v[138:139], v[38:39], v[160:161]
	s_waitcnt lgkmcnt(4)
	v_mul_f64 v[164:165], v[38:39], v[150:151]
	s_waitcnt lgkmcnt(1)
	;; [unrolled: 2-line block ×3, first 2 shown]
	v_mul_f64 v[174:175], v[38:39], v[136:137]
	v_mul_f64 v[166:167], v[38:39], v[148:149]
	;; [unrolled: 1-line block ×3, first 2 shown]
	v_fma_f64 v[124:125], v[36:37], v[160:161], v[124:125]
	v_fma_f64 v[138:139], v[36:37], v[162:163], -v[138:139]
	v_mul_f64 v[160:161], v[38:39], v[134:135]
	v_mul_f64 v[162:163], v[38:39], v[34:35]
	;; [unrolled: 1-line block ×3, first 2 shown]
	v_fma_f64 v[148:149], v[36:37], v[148:149], v[164:165]
	v_fma_f64 v[164:165], v[36:37], v[126:127], v[170:171]
	;; [unrolled: 1-line block ×3, first 2 shown]
	v_fma_f64 v[150:151], v[36:37], v[150:151], -v[166:167]
	v_add_f64 v[126:127], v[132:133], -v[138:139]
	v_fma_f64 v[138:139], v[36:37], v[128:129], -v[172:173]
	v_fma_f64 v[160:161], v[36:37], v[136:137], -v[160:161]
	v_fma_f64 v[162:163], v[36:37], v[32:33], v[162:163]
	v_fma_f64 v[36:37], v[36:37], v[34:35], -v[38:39]
	v_add_f64 v[128:129], v[140:141], -v[148:149]
	v_add_f64 v[136:137], v[152:153], -v[164:165]
	;; [unrolled: 1-line block ×3, first 2 shown]
	s_barrier
	v_add_f64 v[124:125], v[130:131], -v[124:125]
	v_fma_f64 v[34:35], v[132:133], 2.0, -v[126:127]
	v_add_f64 v[134:135], v[146:147], -v[36:37]
	v_fma_f64 v[36:37], v[140:141], 2.0, -v[128:129]
	v_fma_f64 v[140:141], v[152:153], 2.0, -v[136:137]
	;; [unrolled: 1-line block ×3, first 2 shown]
	buffer_load_dword v156, off, s[52:55], 0 offset:16 ; 4-byte Folded Reload
	v_add_f64 v[138:139], v[154:155], -v[138:139]
	v_fma_f64 v[32:33], v[130:131], 2.0, -v[124:125]
	v_add_f64 v[130:131], v[142:143], -v[150:151]
	v_add_f64 v[150:151], v[158:159], -v[160:161]
	;; [unrolled: 1-line block ×3, first 2 shown]
	v_fma_f64 v[146:147], v[146:147], 2.0, -v[134:135]
	s_waitcnt vmcnt(0)
	ds_write_b128 v156, v[32:35]
	ds_write_b128 v156, v[124:127] offset:128
	buffer_load_dword v156, off, s[52:55], 0 offset:20 ; 4-byte Folded Reload
	v_fma_f64 v[38:39], v[142:143], 2.0, -v[130:131]
	v_fma_f64 v[142:143], v[154:155], 2.0, -v[138:139]
	;; [unrolled: 1-line block ×4, first 2 shown]
	s_waitcnt vmcnt(0)
	ds_write_b128 v156, v[36:39]
	ds_write_b128 v156, v[128:131] offset:128
	buffer_load_dword v156, off, s[52:55], 0 offset:24 ; 4-byte Folded Reload
	s_waitcnt vmcnt(0)
	ds_write_b128 v156, v[140:143]
	ds_write_b128 v156, v[136:139] offset:128
	buffer_load_dword v156, off, s[52:55], 0 offset:28 ; 4-byte Folded Reload
	s_waitcnt vmcnt(0)
	ds_write_b128 v156, v[152:155]
	ds_write_b128 v156, v[148:151] offset:128
	s_and_saveexec_b64 s[6:7], s[2:3]
	s_cbranch_execz .LBB0_33
; %bb.32:
	s_movk_i32 s2, 0x7f0
	v_and_or_b32 v156, v238, s2, v250
	v_lshlrev_b32_e32 v156, 4, v156
	ds_write_b128 v156, v[144:147]
	ds_write_b128 v156, v[132:135] offset:128
.LBB0_33:
	s_or_b64 exec, exec, s[6:7]
	s_waitcnt lgkmcnt(0)
	s_barrier
	s_and_saveexec_b64 s[2:3], s[4:5]
	s_cbranch_execz .LBB0_35
; %bb.34:
	ds_read_b128 v[32:35], v255
	ds_read_b128 v[124:127], v255 offset:2304
	ds_read_b128 v[36:39], v255 offset:4608
	;; [unrolled: 1-line block ×10, first 2 shown]
.LBB0_35:
	s_or_b64 exec, exec, s[2:3]
	s_waitcnt lgkmcnt(0)
	s_barrier
	s_and_saveexec_b64 s[2:3], s[4:5]
	s_cbranch_execz .LBB0_37
; %bb.36:
	v_mul_f64 v[158:159], v[74:75], v[154:155]
	v_mul_f64 v[156:157], v[78:79], v[138:139]
	;; [unrolled: 1-line block ×7, first 2 shown]
	s_mov_b32 s22, 0xfd768dbf
	v_fma_f64 v[58:59], v[72:73], v[152:153], v[158:159]
	v_mul_f64 v[152:153], v[70:71], v[148:149]
	v_mul_f64 v[158:159], v[82:83], v[146:147]
	v_fma_f64 v[74:75], v[76:77], v[136:137], v[156:157]
	v_mul_f64 v[156:157], v[54:55], v[130:131]
	v_fma_f64 v[78:79], v[76:77], v[138:139], -v[78:79]
	v_fma_f64 v[70:71], v[68:69], v[148:149], v[164:165]
	v_fma_f64 v[76:77], v[72:73], v[154:155], -v[160:161]
	v_fma_f64 v[138:139], v[56:57], v[142:143], -v[166:167]
	;; [unrolled: 1-line block ×3, first 2 shown]
	v_fma_f64 v[68:69], v[80:81], v[144:145], v[158:159]
	v_mul_f64 v[152:153], v[54:55], v[128:129]
	v_mul_f64 v[144:145], v[82:83], v[144:145]
	v_fma_f64 v[142:143], v[52:53], v[128:129], v[156:157]
	v_mul_f64 v[156:157], v[50:51], v[126:127]
	v_mul_f64 v[158:159], v[66:67], v[42:43]
	;; [unrolled: 1-line block ×4, first 2 shown]
	v_fma_f64 v[136:137], v[56:57], v[140:141], v[162:163]
	v_fma_f64 v[82:83], v[52:53], v[130:131], -v[152:153]
	v_fma_f64 v[52:53], v[80:81], v[146:147], -v[144:145]
	v_mul_f64 v[80:81], v[46:47], v[38:39]
	v_mul_f64 v[146:147], v[62:63], v[134:135]
	;; [unrolled: 1-line block ×3, first 2 shown]
	s_mov_b32 s23, 0xbfd207e7
	s_mov_b32 s28, 0xf8bb580b
	;; [unrolled: 1-line block ×5, first 2 shown]
	v_fma_f64 v[144:145], v[44:45], v[36:37], v[80:81]
	v_fma_f64 v[80:81], v[60:61], v[132:133], v[146:147]
	v_mul_f64 v[146:147], v[46:47], v[36:37]
	v_fma_f64 v[46:47], v[48:49], v[124:125], v[156:157]
	v_fma_f64 v[36:37], v[64:65], v[40:41], v[158:159]
	v_fma_f64 v[156:157], v[48:49], v[126:127], -v[50:51]
	v_fma_f64 v[40:41], v[64:65], v[42:43], -v[66:67]
	v_add_f64 v[128:129], v[142:143], -v[68:69]
	v_add_f64 v[174:175], v[82:83], -v[52:53]
	;; [unrolled: 1-line block ×3, first 2 shown]
	v_fma_f64 v[146:147], v[44:45], v[38:39], -v[146:147]
	v_fma_f64 v[38:39], v[60:61], v[134:135], -v[62:63]
	v_add_f64 v[160:161], v[46:47], -v[36:37]
	v_add_f64 v[172:173], v[36:37], v[46:47]
	v_add_f64 v[162:163], v[156:157], -v[40:41]
	v_add_f64 v[164:165], v[40:41], v[156:157]
	v_add_f64 v[176:177], v[80:81], v[144:145]
	v_mul_f64 v[48:49], v[158:159], s[28:29]
	s_mov_b32 s16, 0xbb3a28a1
	v_add_f64 v[170:171], v[146:147], -v[38:39]
	v_mul_f64 v[44:45], v[160:161], s[22:23]
	v_add_f64 v[166:167], v[38:39], v[146:147]
	v_mul_f64 v[50:51], v[162:163], s[22:23]
	s_mov_b32 s24, 0x8764f0ba
	s_mov_b32 s17, 0xbfe82f19
	;; [unrolled: 1-line block ×3, first 2 shown]
	v_add_f64 v[148:149], v[136:137], -v[70:71]
	v_mul_f64 v[62:63], v[170:171], s[28:29]
	v_fma_f64 v[60:61], v[164:165], s[20:21], v[44:45]
	v_fma_f64 v[44:45], v[164:165], s[20:21], -v[44:45]
	v_fma_f64 v[64:65], v[172:173], s[20:21], -v[50:51]
	v_mul_f64 v[152:153], v[128:129], s[16:17]
	v_add_f64 v[130:131], v[82:83], v[52:53]
	v_fma_f64 v[66:67], v[166:167], s[24:25], v[48:49]
	v_add_f64 v[178:179], v[138:139], -v[72:73]
	v_add_f64 v[180:181], v[142:143], v[68:69]
	v_add_f64 v[60:61], v[34:35], v[60:61]
	v_mul_f64 v[124:125], v[174:175], s[16:17]
	v_fma_f64 v[126:127], v[176:177], s[24:25], -v[62:63]
	v_add_f64 v[64:65], v[32:33], v[64:65]
	v_fma_f64 v[48:49], v[166:167], s[24:25], -v[48:49]
	v_add_f64 v[44:45], v[34:35], v[44:45]
	s_mov_b32 s18, 0x7f775887
	s_mov_b32 s7, 0x3fed1bb4
	s_mov_b32 s6, 0x8eee2c13
	s_mov_b32 s19, 0xbfe4f49e
	v_add_f64 v[140:141], v[74:75], -v[58:59]
	v_mul_f64 v[154:155], v[148:149], s[6:7]
	v_add_f64 v[54:55], v[138:139], v[72:73]
	v_add_f64 v[60:61], v[66:67], v[60:61]
	;; [unrolled: 1-line block ×3, first 2 shown]
	v_mul_f64 v[66:67], v[178:179], s[6:7]
	v_fma_f64 v[132:133], v[180:181], s[18:19], -v[124:125]
	v_add_f64 v[64:65], v[126:127], v[64:65]
	v_fma_f64 v[126:127], v[130:131], s[18:19], -v[152:153]
	v_add_f64 v[44:45], v[48:49], v[44:45]
	s_mov_b32 s4, 0x43842ef
	s_mov_b32 s14, 0xd9c712b6
	;; [unrolled: 1-line block ×4, first 2 shown]
	v_mul_f64 v[150:151], v[140:141], s[4:5]
	v_add_f64 v[56:57], v[76:77], v[78:79]
	v_fma_f64 v[134:135], v[184:185], s[14:15], -v[66:67]
	v_add_f64 v[64:65], v[132:133], v[64:65]
	v_fma_f64 v[132:133], v[54:55], s[14:15], -v[154:155]
	v_add_f64 v[44:45], v[126:127], v[44:45]
	v_fma_f64 v[50:51], v[172:173], s[20:21], v[50:51]
	v_fma_f64 v[62:63], v[176:177], s[24:25], v[62:63]
	s_mov_b32 s35, 0x3fefac9e
	v_fma_f64 v[126:127], v[56:57], s[26:27], v[150:151]
	s_mov_b32 s34, s4
	v_add_f64 v[64:65], v[134:135], v[64:65]
	v_fma_f64 v[134:135], v[56:57], s[26:27], -v[150:151]
	v_add_f64 v[132:133], v[132:133], v[44:45]
	v_mul_f64 v[44:45], v[160:161], s[16:17]
	v_mul_f64 v[150:151], v[162:163], s[16:17]
	v_add_f64 v[50:51], v[32:33], v[50:51]
	v_fma_f64 v[42:43], v[130:131], s[18:19], v[152:153]
	v_fma_f64 v[48:49], v[54:55], s[14:15], v[154:155]
	v_fma_f64 v[124:125], v[180:181], s[18:19], v[124:125]
	v_mul_f64 v[152:153], v[158:159], s[34:35]
	v_mul_f64 v[188:189], v[170:171], s[34:35]
	v_fma_f64 v[154:155], v[164:165], s[18:19], v[44:45]
	v_fma_f64 v[190:191], v[172:173], s[18:19], -v[150:151]
	v_add_f64 v[50:51], v[62:63], v[50:51]
	s_mov_b32 s31, 0xbfe14ced
	s_mov_b32 s30, s28
	v_add_f64 v[182:183], v[78:79], -v[76:77]
	v_add_f64 v[42:43], v[42:43], v[60:61]
	v_mul_f64 v[192:193], v[128:129], s[30:31]
	v_fma_f64 v[194:195], v[166:167], s[26:27], v[152:153]
	v_add_f64 v[154:155], v[34:35], v[154:155]
	v_mul_f64 v[196:197], v[174:175], s[30:31]
	v_fma_f64 v[198:199], v[176:177], s[26:27], -v[188:189]
	v_add_f64 v[190:191], v[32:33], v[190:191]
	v_fma_f64 v[62:63], v[184:185], s[14:15], v[66:67]
	v_add_f64 v[50:51], v[124:125], v[50:51]
	v_fma_f64 v[44:45], v[164:165], s[18:19], -v[44:45]
	v_add_f64 v[186:187], v[58:59], v[74:75]
	v_mul_f64 v[60:61], v[182:183], s[4:5]
	v_add_f64 v[42:43], v[48:49], v[42:43]
	v_mul_f64 v[66:67], v[148:149], s[22:23]
	v_fma_f64 v[200:201], v[130:131], s[24:25], v[192:193]
	v_add_f64 v[154:155], v[194:195], v[154:155]
	v_mul_f64 v[194:195], v[178:179], s[22:23]
	v_fma_f64 v[202:203], v[180:181], s[24:25], -v[196:197]
	v_add_f64 v[190:191], v[198:199], v[190:191]
	v_add_f64 v[62:63], v[62:63], v[50:51]
	v_fma_f64 v[50:51], v[166:167], s[26:27], -v[152:153]
	v_add_f64 v[152:153], v[34:35], v[44:45]
	v_fma_f64 v[48:49], v[186:187], s[26:27], -v[60:61]
	v_mul_f64 v[124:125], v[140:141], s[6:7]
	v_fma_f64 v[198:199], v[54:55], s[20:21], v[66:67]
	v_add_f64 v[154:155], v[200:201], v[154:155]
	v_mul_f64 v[200:201], v[182:183], s[6:7]
	v_fma_f64 v[204:205], v[184:185], s[20:21], -v[194:195]
	v_add_f64 v[190:191], v[202:203], v[190:191]
	v_add_f64 v[44:45], v[126:127], v[42:43]
	;; [unrolled: 1-line block ×4, first 2 shown]
	v_mul_f64 v[132:133], v[160:161], s[4:5]
	s_mov_b32 s37, 0x3fd207e7
	s_mov_b32 s36, s22
	v_fma_f64 v[60:61], v[186:187], s[26:27], v[60:61]
	v_fma_f64 v[202:203], v[56:57], s[14:15], v[124:125]
	v_add_f64 v[154:155], v[198:199], v[154:155]
	v_fma_f64 v[198:199], v[186:187], s[14:15], -v[200:201]
	v_add_f64 v[190:191], v[204:205], v[190:191]
	v_add_f64 v[42:43], v[48:49], v[64:65]
	v_fma_f64 v[64:65], v[130:131], s[24:25], -v[192:193]
	v_fma_f64 v[134:135], v[172:173], s[18:19], v[150:151]
	v_mul_f64 v[150:151], v[158:159], s[36:37]
	v_fma_f64 v[152:153], v[164:165], s[26:27], v[132:133]
	v_add_f64 v[48:49], v[60:61], v[62:63]
	v_add_f64 v[62:63], v[202:203], v[154:155]
	;; [unrolled: 1-line block ×3, first 2 shown]
	v_fma_f64 v[66:67], v[54:55], s[20:21], -v[66:67]
	v_add_f64 v[64:65], v[64:65], v[126:127]
	v_fma_f64 v[126:127], v[176:177], s[26:27], v[188:189]
	v_add_f64 v[134:135], v[32:33], v[134:135]
	v_mul_f64 v[154:155], v[128:129], s[6:7]
	v_mul_f64 v[188:189], v[162:163], s[4:5]
	v_fma_f64 v[190:191], v[166:167], s[20:21], v[150:151]
	v_add_f64 v[152:153], v[34:35], v[152:153]
	v_fma_f64 v[192:193], v[184:185], s[20:21], v[194:195]
	v_add_f64 v[64:65], v[66:67], v[64:65]
	;; [unrolled: 2-line block ×3, first 2 shown]
	v_fma_f64 v[134:135], v[186:187], s[14:15], v[200:201]
	v_mul_f64 v[194:195], v[148:149], s[30:31]
	v_mul_f64 v[196:197], v[170:171], s[36:37]
	v_fma_f64 v[198:199], v[172:173], s[26:27], -v[188:189]
	v_fma_f64 v[200:201], v[130:131], s[14:15], v[154:155]
	v_add_f64 v[152:153], v[190:191], v[152:153]
	v_mul_f64 v[190:191], v[140:141], s[16:17]
	v_add_f64 v[66:67], v[66:67], v[126:127]
	v_fma_f64 v[126:127], v[164:165], s[26:27], -v[132:133]
	v_fma_f64 v[204:205], v[54:55], s[24:25], v[194:195]
	v_fma_f64 v[132:133], v[176:177], s[20:21], -v[196:197]
	v_add_f64 v[198:199], v[32:33], v[198:199]
	v_mul_f64 v[202:203], v[174:175], s[6:7]
	v_add_f64 v[152:153], v[200:201], v[152:153]
	v_fma_f64 v[150:151], v[166:167], s[20:21], -v[150:151]
	s_mov_b32 s7, 0xbfed1bb4
	v_add_f64 v[126:127], v[34:35], v[126:127]
	v_fma_f64 v[124:125], v[56:57], s[14:15], -v[124:125]
	v_add_f64 v[192:193], v[192:193], v[66:67]
	v_add_f64 v[132:133], v[132:133], v[198:199]
	v_fma_f64 v[198:199], v[56:57], s[18:19], v[190:191]
	v_add_f64 v[152:153], v[204:205], v[152:153]
	v_mul_f64 v[200:201], v[178:179], s[30:31]
	v_fma_f64 v[206:207], v[180:181], s[14:15], -v[202:203]
	v_fma_f64 v[154:155], v[130:131], s[14:15], -v[154:155]
	v_add_f64 v[150:151], v[150:151], v[126:127]
	v_add_f64 v[66:67], v[124:125], v[64:65]
	;; [unrolled: 1-line block ×3, first 2 shown]
	v_fma_f64 v[134:135], v[54:55], s[24:25], -v[194:195]
	v_add_f64 v[126:127], v[198:199], v[152:153]
	v_mul_f64 v[152:153], v[160:161], s[6:7]
	v_fma_f64 v[204:205], v[184:185], s[24:25], -v[200:201]
	v_add_f64 v[132:133], v[206:207], v[132:133]
	v_add_f64 v[150:151], v[154:155], v[150:151]
	v_mul_f64 v[192:193], v[162:163], s[6:7]
	v_fma_f64 v[188:189], v[172:173], s[26:27], v[188:189]
	v_mul_f64 v[194:195], v[158:159], s[16:17]
	v_add_f64 v[156:157], v[34:35], v[156:157]
	v_fma_f64 v[198:199], v[164:165], s[14:15], v[152:153]
	v_add_f64 v[46:47], v[32:33], v[46:47]
	v_add_f64 v[132:133], v[204:205], v[132:133]
	;; [unrolled: 1-line block ×3, first 2 shown]
	v_fma_f64 v[150:151], v[176:177], s[20:21], v[196:197]
	v_mul_f64 v[196:197], v[170:171], s[16:17]
	v_fma_f64 v[204:205], v[172:173], s[14:15], -v[192:193]
	v_add_f64 v[188:189], v[32:33], v[188:189]
	v_mul_f64 v[206:207], v[128:129], s[36:37]
	v_fma_f64 v[208:209], v[166:167], s[18:19], v[194:195]
	v_add_f64 v[198:199], v[34:35], v[198:199]
	v_add_f64 v[146:147], v[146:147], v[156:157]
	;; [unrolled: 1-line block ×3, first 2 shown]
	v_fma_f64 v[152:153], v[164:165], s[14:15], -v[152:153]
	v_mul_f64 v[124:125], v[182:183], s[16:17]
	v_fma_f64 v[190:191], v[56:57], s[18:19], -v[190:191]
	v_fma_f64 v[202:203], v[180:181], s[14:15], v[202:203]
	v_mul_f64 v[210:211], v[174:175], s[36:37]
	v_fma_f64 v[212:213], v[176:177], s[18:19], -v[196:197]
	v_add_f64 v[204:205], v[32:33], v[204:205]
	v_add_f64 v[150:151], v[150:151], v[188:189]
	v_mul_f64 v[188:189], v[148:149], s[34:35]
	v_fma_f64 v[218:219], v[130:131], s[20:21], v[206:207]
	v_add_f64 v[198:199], v[208:209], v[198:199]
	v_add_f64 v[82:83], v[82:83], v[146:147]
	;; [unrolled: 1-line block ×3, first 2 shown]
	v_fma_f64 v[194:195], v[166:167], s[18:19], -v[194:195]
	v_add_f64 v[152:153], v[34:35], v[152:153]
	v_mul_f64 v[160:161], v[160:161], s[30:31]
	v_fma_f64 v[154:155], v[186:187], s[18:19], -v[124:125]
	v_fma_f64 v[200:201], v[184:185], s[24:25], v[200:201]
	v_fma_f64 v[220:221], v[180:181], s[20:21], -v[210:211]
	v_add_f64 v[204:205], v[212:213], v[204:205]
	v_add_f64 v[150:151], v[202:203], v[150:151]
	v_mul_f64 v[202:203], v[140:141], s[28:29]
	v_fma_f64 v[212:213], v[54:55], s[26:27], v[188:189]
	v_add_f64 v[198:199], v[218:219], v[198:199]
	v_add_f64 v[134:135], v[190:191], v[134:135]
	v_fma_f64 v[190:191], v[172:173], s[14:15], v[192:193]
	v_add_f64 v[82:83], v[138:139], v[82:83]
	v_add_f64 v[46:47], v[136:137], v[46:47]
	;; [unrolled: 1-line block ×3, first 2 shown]
	v_fma_f64 v[194:195], v[176:177], s[18:19], v[196:197]
	v_mul_f64 v[158:159], v[158:159], s[6:7]
	v_fma_f64 v[196:197], v[164:165], s[24:25], v[160:161]
	v_mul_f64 v[136:137], v[162:163], s[30:31]
	v_add_f64 v[204:205], v[220:221], v[204:205]
	v_fma_f64 v[220:221], v[186:187], s[18:19], v[124:125]
	v_add_f64 v[150:151], v[200:201], v[150:151]
	v_fma_f64 v[200:201], v[56:57], s[24:25], v[202:203]
	v_add_f64 v[198:199], v[212:213], v[198:199]
	v_add_f64 v[124:125], v[154:155], v[132:133]
	v_fma_f64 v[154:155], v[130:131], s[20:21], -v[206:207]
	v_add_f64 v[190:191], v[32:33], v[190:191]
	v_fma_f64 v[160:161], v[164:165], s[24:25], -v[160:161]
	v_add_f64 v[78:79], v[78:79], v[82:83]
	v_add_f64 v[46:47], v[74:75], v[46:47]
	v_mul_f64 v[128:129], v[128:129], s[4:5]
	v_fma_f64 v[144:145], v[166:167], s[14:15], v[158:159]
	v_add_f64 v[156:157], v[34:35], v[196:197]
	v_mul_f64 v[162:163], v[170:171], s[6:7]
	v_fma_f64 v[74:75], v[172:173], s[24:25], v[136:137]
	v_mul_f64 v[208:209], v[178:179], s[34:35]
	v_add_f64 v[152:153], v[200:201], v[198:199]
	v_fma_f64 v[188:189], v[54:55], s[26:27], -v[188:189]
	v_add_f64 v[154:155], v[154:155], v[192:193]
	v_fma_f64 v[198:199], v[180:181], s[20:21], v[210:211]
	v_add_f64 v[190:191], v[194:195], v[190:191]
	v_fma_f64 v[136:137], v[172:173], s[24:25], -v[136:137]
	v_fma_f64 v[158:159], v[166:167], s[14:15], -v[158:159]
	v_add_f64 v[34:35], v[34:35], v[160:161]
	v_add_f64 v[76:77], v[76:77], v[78:79]
	;; [unrolled: 1-line block ×3, first 2 shown]
	v_fma_f64 v[142:143], v[130:131], s[26:27], v[128:129]
	v_add_f64 v[144:145], v[144:145], v[156:157]
	v_mul_f64 v[82:83], v[174:175], s[4:5]
	v_fma_f64 v[160:161], v[176:177], s[14:15], v[162:163]
	v_add_f64 v[58:59], v[32:33], v[74:75]
	v_add_f64 v[154:155], v[188:189], v[154:155]
	v_fma_f64 v[188:189], v[184:185], s[26:27], v[208:209]
	v_add_f64 v[190:191], v[198:199], v[190:191]
	v_mul_f64 v[148:149], v[148:149], s[16:17]
	v_fma_f64 v[74:75], v[176:177], s[14:15], -v[162:163]
	v_add_f64 v[32:33], v[32:33], v[136:137]
	v_fma_f64 v[78:79], v[130:131], s[26:27], -v[128:129]
	v_add_f64 v[34:35], v[158:159], v[34:35]
	v_add_f64 v[72:73], v[72:73], v[76:77]
	;; [unrolled: 1-line block ×4, first 2 shown]
	v_mul_f64 v[144:145], v[178:179], s[16:17]
	v_fma_f64 v[128:129], v[180:181], s[26:27], v[82:83]
	v_add_f64 v[58:59], v[160:161], v[58:59]
	v_mul_f64 v[140:141], v[140:141], s[22:23]
	v_add_f64 v[156:157], v[188:189], v[190:191]
	v_fma_f64 v[190:191], v[54:55], s[18:19], v[148:149]
	v_fma_f64 v[70:71], v[180:181], s[26:27], -v[82:83]
	v_add_f64 v[32:33], v[74:75], v[32:33]
	v_fma_f64 v[54:55], v[54:55], s[18:19], -v[148:149]
	v_add_f64 v[34:35], v[78:79], v[34:35]
	v_add_f64 v[52:53], v[52:53], v[72:73]
	;; [unrolled: 1-line block ×3, first 2 shown]
	v_mul_f64 v[142:143], v[182:183], s[22:23]
	v_fma_f64 v[74:75], v[184:185], s[18:19], v[144:145]
	v_add_f64 v[58:59], v[128:129], v[58:59]
	v_mul_f64 v[218:219], v[182:183], s[28:29]
	v_fma_f64 v[222:223], v[184:185], s[26:27], -v[208:209]
	v_fma_f64 v[192:193], v[56:57], s[24:25], -v[202:203]
	v_fma_f64 v[188:189], v[56:57], s[20:21], v[140:141]
	v_fma_f64 v[68:69], v[184:185], s[18:19], -v[144:145]
	v_add_f64 v[32:33], v[70:71], v[32:33]
	v_fma_f64 v[56:57], v[56:57], s[20:21], -v[140:141]
	v_add_f64 v[54:55], v[54:55], v[34:35]
	v_add_f64 v[52:53], v[38:39], v[52:53]
	;; [unrolled: 1-line block ×3, first 2 shown]
	v_fma_f64 v[70:71], v[186:187], s[20:21], v[142:143]
	v_add_f64 v[58:59], v[74:75], v[58:59]
	v_fma_f64 v[146:147], v[186:187], s[24:25], v[218:219]
	v_fma_f64 v[212:213], v[186:187], s[24:25], -v[218:219]
	v_add_f64 v[204:205], v[222:223], v[204:205]
	v_add_f64 v[72:73], v[190:191], v[138:139]
	v_fma_f64 v[74:75], v[186:187], s[20:21], -v[142:143]
	v_add_f64 v[68:69], v[68:69], v[32:33]
	v_add_f64 v[38:39], v[56:57], v[54:55]
	;; [unrolled: 1-line block ×8, first 2 shown]
	v_mul_u32_u24_e32 v40, 0xb0, v254
	v_or_b32_e32 v40, v40, v232
	v_lshlrev_b32_e32 v40, 4, v40
	v_add_f64 v[150:151], v[212:213], v[204:205]
	v_add_f64 v[58:59], v[188:189], v[72:73]
	;; [unrolled: 1-line block ×3, first 2 shown]
	ds_write_b128 v40, v[52:55]
	ds_write_b128 v40, v[36:39] offset:256
	ds_write_b128 v40, v[32:35] offset:512
	;; [unrolled: 1-line block ×10, first 2 shown]
.LBB0_37:
	s_or_b64 exec, exec, s[2:3]
	s_waitcnt lgkmcnt(0)
	s_barrier
	ds_read_b128 v[32:35], v255 offset:8448
	ds_read_b128 v[36:39], v255
	ds_read_b128 v[40:43], v255 offset:2816
	ds_read_b128 v[44:47], v255 offset:16896
	;; [unrolled: 1-line block ×4, first 2 shown]
	s_waitcnt lgkmcnt(5)
	v_mul_f64 v[68:69], v[90:91], v[34:35]
	ds_read_b128 v[56:59], v255 offset:11264
	ds_read_b128 v[60:63], v255 offset:14080
	s_waitcnt lgkmcnt(4)
	v_mul_f64 v[72:73], v[86:87], v[46:47]
	v_mul_f64 v[70:71], v[90:91], v[32:33]
	;; [unrolled: 1-line block ×3, first 2 shown]
	s_waitcnt lgkmcnt(1)
	v_mul_f64 v[76:77], v[90:91], v[58:59]
	v_mul_f64 v[78:79], v[90:91], v[56:57]
	v_fma_f64 v[68:69], v[88:89], v[32:33], v[68:69]
	v_mul_f64 v[32:33], v[86:87], v[50:51]
	ds_read_b128 v[64:67], v255 offset:22528
	v_fma_f64 v[44:45], v[84:85], v[44:45], v[72:73]
	v_fma_f64 v[34:35], v[88:89], v[34:35], -v[70:71]
	v_fma_f64 v[46:47], v[84:85], v[46:47], -v[74:75]
	v_mul_f64 v[70:71], v[86:87], v[48:49]
	v_fma_f64 v[72:73], v[88:89], v[56:57], v[76:77]
	s_waitcnt lgkmcnt(1)
	v_mul_f64 v[56:57], v[98:99], v[62:63]
	v_mul_f64 v[74:75], v[98:99], v[60:61]
	v_fma_f64 v[58:59], v[88:89], v[58:59], -v[78:79]
	v_add_f64 v[76:77], v[68:69], v[44:45]
	v_fma_f64 v[78:79], v[84:85], v[48:49], v[32:33]
	s_waitcnt lgkmcnt(0)
	v_mul_f64 v[32:33], v[94:95], v[66:67]
	v_fma_f64 v[50:51], v[84:85], v[50:51], -v[70:71]
	v_mul_f64 v[48:49], v[94:95], v[64:65]
	v_add_f64 v[70:71], v[36:37], v[68:69]
	v_fma_f64 v[60:61], v[96:97], v[60:61], v[56:57]
	v_fma_f64 v[62:63], v[96:97], v[62:63], -v[74:75]
	v_fma_f64 v[56:57], v[76:77], -0.5, v[36:37]
	v_add_f64 v[76:77], v[34:35], v[46:47]
	v_add_f64 v[74:75], v[34:35], -v[46:47]
	v_fma_f64 v[64:65], v[92:93], v[64:65], v[32:33]
	v_fma_f64 v[66:67], v[92:93], v[66:67], -v[48:49]
	v_add_f64 v[32:33], v[70:71], v[44:45]
	v_add_f64 v[48:49], v[72:73], v[78:79]
	;; [unrolled: 1-line block ×3, first 2 shown]
	v_add_f64 v[68:69], v[68:69], -v[44:45]
	v_fma_f64 v[70:71], v[76:77], -0.5, v[38:39]
	s_mov_b32 s2, 0xe8584caa
	s_mov_b32 s3, 0xbfebb67a
	;; [unrolled: 1-line block ×4, first 2 shown]
	v_fma_f64 v[36:37], v[74:75], s[2:3], v[56:57]
	v_fma_f64 v[44:45], v[74:75], s[4:5], v[56:57]
	v_add_f64 v[74:75], v[58:59], v[50:51]
	v_add_f64 v[76:77], v[40:41], v[72:73]
	v_fma_f64 v[80:81], v[48:49], -0.5, v[40:41]
	v_add_f64 v[82:83], v[58:59], -v[50:51]
	v_add_f64 v[34:35], v[34:35], v[46:47]
	v_fma_f64 v[38:39], v[68:69], s[4:5], v[70:71]
	v_fma_f64 v[46:47], v[68:69], s[2:3], v[70:71]
	v_add_f64 v[68:69], v[60:61], v[64:65]
	v_add_f64 v[70:71], v[62:63], v[66:67]
	;; [unrolled: 1-line block ×3, first 2 shown]
	v_fma_f64 v[74:75], v[74:75], -0.5, v[42:43]
	v_add_f64 v[72:73], v[72:73], -v[78:79]
	v_add_f64 v[40:41], v[76:77], v[78:79]
	v_add_f64 v[76:77], v[52:53], v[60:61]
	v_add_f64 v[78:79], v[62:63], -v[66:67]
	v_add_f64 v[62:63], v[54:55], v[62:63]
	v_fma_f64 v[48:49], v[82:83], s[2:3], v[80:81]
	v_fma_f64 v[56:57], v[82:83], s[4:5], v[80:81]
	v_fma_f64 v[68:69], v[68:69], -0.5, v[52:53]
	v_fma_f64 v[70:71], v[70:71], -0.5, v[54:55]
	v_add_f64 v[80:81], v[60:61], -v[64:65]
	v_add_f64 v[42:43], v[58:59], v[50:51]
	v_fma_f64 v[50:51], v[72:73], s[4:5], v[74:75]
	v_fma_f64 v[58:59], v[72:73], s[2:3], v[74:75]
	v_add_f64 v[52:53], v[76:77], v[64:65]
	v_add_f64 v[54:55], v[62:63], v[66:67]
	v_fma_f64 v[60:61], v[78:79], s[2:3], v[68:69]
	v_fma_f64 v[64:65], v[78:79], s[4:5], v[68:69]
	;; [unrolled: 1-line block ×4, first 2 shown]
	s_barrier
	ds_write_b128 v255, v[32:35]
	ds_write_b128 v255, v[36:39] offset:2816
	ds_write_b128 v255, v[44:47] offset:5632
	;; [unrolled: 1-line block ×8, first 2 shown]
	s_waitcnt lgkmcnt(0)
	s_barrier
	ds_read_b128 v[32:35], v255 offset:8448
	ds_read_b128 v[36:39], v255
	ds_read_b128 v[40:43], v255 offset:2816
	ds_read_b128 v[44:47], v255 offset:5632
	;; [unrolled: 1-line block ×7, first 2 shown]
	s_waitcnt lgkmcnt(8)
	v_mul_f64 v[70:71], v[106:107], v[34:35]
	v_mul_f64 v[72:73], v[106:107], v[32:33]
	s_waitcnt lgkmcnt(4)
	v_mul_f64 v[74:75], v[102:103], v[50:51]
	v_mul_f64 v[76:77], v[102:103], v[48:49]
	s_waitcnt lgkmcnt(3)
	v_mul_f64 v[78:79], v[110:111], v[54:55]
	v_mad_u64_u32 v[68:69], s[6:7], s10, v237, 0
	s_mul_hi_u32 s7, s8, 0xfffffc0c
	v_fma_f64 v[32:33], v[104:105], v[32:33], v[70:71]
	s_waitcnt lgkmcnt(2)
	v_mul_f64 v[70:71], v[118:119], v[58:59]
	v_fma_f64 v[34:35], v[104:105], v[34:35], -v[72:73]
	v_mul_f64 v[72:73], v[118:119], v[56:57]
	v_fma_f64 v[48:49], v[100:101], v[48:49], v[74:75]
	v_mul_f64 v[74:75], v[110:111], v[52:53]
	v_fma_f64 v[50:51], v[100:101], v[50:51], -v[76:77]
	s_waitcnt lgkmcnt(1)
	v_mul_f64 v[76:77], v[122:123], v[62:63]
	s_mul_i32 s6, s9, 0xfffffc0c
	v_fma_f64 v[70:71], v[116:117], v[56:57], v[70:71]
	v_mul_f64 v[56:57], v[122:123], v[60:61]
	v_fma_f64 v[58:59], v[116:117], v[58:59], -v[72:73]
	v_fma_f64 v[72:73], v[108:109], v[52:53], v[78:79]
	v_fma_f64 v[54:55], v[108:109], v[54:55], -v[74:75]
	s_waitcnt lgkmcnt(0)
	v_mul_f64 v[74:75], v[114:115], v[66:67]
	v_add_f64 v[52:53], v[32:33], v[48:49]
	v_fma_f64 v[60:61], v[120:121], v[60:61], v[76:77]
	v_mul_f64 v[76:77], v[114:115], v[64:65]
	v_fma_f64 v[62:63], v[120:121], v[62:63], -v[56:57]
	v_add_f64 v[56:57], v[34:35], v[50:51]
	v_add_f64 v[78:79], v[36:37], v[32:33]
	v_add_f64 v[80:81], v[34:35], -v[50:51]
	v_fma_f64 v[64:65], v[112:113], v[64:65], v[74:75]
	v_add_f64 v[74:75], v[70:71], v[72:73]
	v_fma_f64 v[52:53], v[52:53], -0.5, v[36:37]
	v_fma_f64 v[66:67], v[112:113], v[66:67], -v[76:77]
	v_add_f64 v[34:35], v[38:39], v[34:35]
	v_fma_f64 v[56:57], v[56:57], -0.5, v[38:39]
	v_add_f64 v[76:77], v[32:33], -v[48:49]
	v_add_f64 v[82:83], v[58:59], -v[54:55]
	v_add_f64 v[32:33], v[78:79], v[48:49]
	v_fma_f64 v[74:75], v[74:75], -0.5, v[40:41]
	v_fma_f64 v[36:37], v[80:81], s[2:3], v[52:53]
	v_add_f64 v[78:79], v[40:41], v[70:71]
	v_fma_f64 v[48:49], v[80:81], s[4:5], v[52:53]
	v_add_f64 v[80:81], v[58:59], v[54:55]
	v_add_f64 v[34:35], v[34:35], v[50:51]
	v_fma_f64 v[38:39], v[76:77], s[4:5], v[56:57]
	v_fma_f64 v[50:51], v[76:77], s[2:3], v[56:57]
	v_add_f64 v[76:77], v[60:61], v[64:65]
	v_fma_f64 v[52:53], v[82:83], s[2:3], v[74:75]
	v_fma_f64 v[56:57], v[82:83], s[4:5], v[74:75]
	v_add_f64 v[74:75], v[62:63], v[66:67]
	v_add_f64 v[58:59], v[42:43], v[58:59]
	;; [unrolled: 1-line block ×3, first 2 shown]
	v_fma_f64 v[78:79], v[80:81], -0.5, v[42:43]
	v_add_f64 v[70:71], v[70:71], -v[72:73]
	v_add_f64 v[72:73], v[44:45], v[60:61]
	v_add_f64 v[80:81], v[62:63], -v[66:67]
	v_add_f64 v[62:63], v[46:47], v[62:63]
	v_fma_f64 v[76:77], v[76:77], -0.5, v[44:45]
	v_fma_f64 v[74:75], v[74:75], -0.5, v[46:47]
	v_add_f64 v[82:83], v[60:61], -v[64:65]
	v_add_f64 v[42:43], v[58:59], v[54:55]
	v_fma_f64 v[54:55], v[70:71], s[4:5], v[78:79]
	v_fma_f64 v[58:59], v[70:71], s[2:3], v[78:79]
	v_add_f64 v[44:45], v[72:73], v[64:65]
	v_add_f64 v[46:47], v[62:63], v[66:67]
	v_fma_f64 v[60:61], v[80:81], s[2:3], v[76:77]
	v_fma_f64 v[64:65], v[80:81], s[4:5], v[76:77]
	;; [unrolled: 1-line block ×4, first 2 shown]
	ds_write_b128 v255, v[32:35]
	ds_write_b128 v255, v[36:39] offset:8448
	ds_write_b128 v255, v[48:51] offset:16896
	;; [unrolled: 1-line block ×8, first 2 shown]
	s_waitcnt lgkmcnt(0)
	s_barrier
	ds_read_b128 v[32:35], v255
	ds_read_b128 v[36:39], v255 offset:2816
	v_mov_b32_e32 v40, v69
	v_mov_b32_e32 v50, s13
	s_sub_i32 s7, s7, s8
	s_waitcnt lgkmcnt(1)
	v_mul_f64 v[41:42], v[30:31], v[34:35]
	v_mul_f64 v[30:31], v[30:31], v[32:33]
	s_add_i32 s7, s7, s6
	s_mul_i32 s6, s8, 0xfffffc0c
	s_lshl_b64 s[6:7], s[6:7], 4
	v_fma_f64 v[32:33], v[28:29], v[32:33], v[41:42]
	v_mad_u64_u32 v[43:44], s[2:3], s11, v237, v[40:41]
	v_mad_u64_u32 v[44:45], s[2:3], s8, v217, 0
	s_mov_b32 s2, 0xa052bf5b
	v_fma_f64 v[30:31], v[28:29], v[34:35], -v[30:31]
	s_mov_b32 s3, 0x3f44afd6
	v_mov_b32_e32 v28, v45
	v_mad_u64_u32 v[40:41], s[4:5], s9, v217, v[28:29]
	v_mul_f64 v[28:29], v[32:33], s[2:3]
	ds_read_b128 v[32:35], v255 offset:6336
	v_mov_b32_e32 v69, v43
	v_mov_b32_e32 v45, v40
	ds_read_b128 v[40:43], v255 offset:9152
	v_mul_f64 v[30:31], v[30:31], s[2:3]
	s_waitcnt lgkmcnt(1)
	v_mul_f64 v[48:49], v[2:3], v[34:35]
	v_mul_f64 v[2:3], v[2:3], v[32:33]
	v_lshlrev_b64 v[46:47], 4, v[68:69]
	v_lshlrev_b64 v[44:45], 4, v[44:45]
	v_add_co_u32_e32 v46, vcc, s12, v46
	v_addc_co_u32_e32 v47, vcc, v50, v47, vcc
	v_fma_f64 v[32:33], v[0:1], v[32:33], v[48:49]
	v_fma_f64 v[34:35], v[0:1], v[34:35], -v[2:3]
	ds_read_b128 v[0:3], v255 offset:12672
	v_add_co_u32_e32 v48, vcc, v46, v44
	v_addc_co_u32_e32 v49, vcc, v47, v45, vcc
	global_store_dwordx4 v[48:49], v[28:31], off
	ds_read_b128 v[44:47], v255 offset:19008
	v_mul_f64 v[28:29], v[32:33], s[2:3]
	v_mul_f64 v[30:31], v[34:35], s[2:3]
	ds_read_b128 v[32:35], v255 offset:15488
	s_waitcnt lgkmcnt(2)
	v_mul_f64 v[50:51], v[6:7], v[2:3]
	v_mul_f64 v[6:7], v[6:7], v[0:1]
	s_mul_i32 s4, s9, 0x18c
	s_mul_hi_u32 s5, s8, 0x18c
	s_add_i32 s5, s5, s4
	s_mul_i32 s4, s8, 0x18c
	s_lshl_b64 s[4:5], s[4:5], 4
	v_mov_b32_e32 v54, s5
	v_fma_f64 v[50:51], v[4:5], v[0:1], v[50:51]
	v_fma_f64 v[6:7], v[4:5], v[2:3], -v[6:7]
	ds_read_b128 v[0:3], v255 offset:21824
	s_waitcnt lgkmcnt(2)
	v_mul_f64 v[52:53], v[10:11], v[46:47]
	v_mul_f64 v[10:11], v[10:11], v[44:45]
	v_add_co_u32_e32 v48, vcc, s4, v48
	v_addc_co_u32_e32 v49, vcc, v49, v54, vcc
	global_store_dwordx4 v[48:49], v[28:31], off
	v_mul_f64 v[4:5], v[50:51], s[2:3]
	v_fma_f64 v[28:29], v[8:9], v[44:45], v[52:53]
	v_fma_f64 v[10:11], v[8:9], v[46:47], -v[10:11]
	v_mul_f64 v[30:31], v[14:15], v[38:39]
	v_mul_f64 v[14:15], v[14:15], v[36:37]
	;; [unrolled: 1-line block ×3, first 2 shown]
	v_add_co_u32_e32 v44, vcc, s4, v48
	v_addc_co_u32_e32 v45, vcc, v49, v54, vcc
	v_mul_f64 v[8:9], v[28:29], s[2:3]
	v_mul_f64 v[10:11], v[10:11], s[2:3]
	v_fma_f64 v[28:29], v[12:13], v[36:37], v[30:31]
	v_fma_f64 v[12:13], v[12:13], v[38:39], -v[14:15]
	v_add_co_u32_e32 v14, vcc, s4, v44
	v_addc_co_u32_e32 v15, vcc, v45, v54, vcc
	global_store_dwordx4 v[44:45], v[4:7], off
	global_store_dwordx4 v[14:15], v[8:11], off
	v_mul_f64 v[4:5], v[28:29], s[2:3]
	v_mul_f64 v[8:9], v[18:19], v[42:43]
	;; [unrolled: 1-line block ×4, first 2 shown]
	s_waitcnt lgkmcnt(1)
	v_mul_f64 v[12:13], v[22:23], v[34:35]
	s_waitcnt lgkmcnt(0)
	v_mul_f64 v[18:19], v[26:27], v[2:3]
	v_mov_b32_e32 v28, s7
	v_add_co_u32_e32 v14, vcc, s6, v14
	v_fma_f64 v[8:9], v[16:17], v[40:41], v[8:9]
	v_fma_f64 v[10:11], v[16:17], v[42:43], -v[10:11]
	v_mul_f64 v[16:17], v[22:23], v[32:33]
	v_mul_f64 v[22:23], v[26:27], v[0:1]
	v_addc_co_u32_e32 v15, vcc, v15, v28, vcc
	global_store_dwordx4 v[14:15], v[4:7], off
	v_add_co_u32_e32 v14, vcc, s4, v14
	v_mul_f64 v[4:5], v[8:9], s[2:3]
	v_mul_f64 v[6:7], v[10:11], s[2:3]
	v_fma_f64 v[8:9], v[20:21], v[32:33], v[12:13]
	v_fma_f64 v[10:11], v[20:21], v[34:35], -v[16:17]
	v_fma_f64 v[12:13], v[24:25], v[0:1], v[18:19]
	v_fma_f64 v[16:17], v[24:25], v[2:3], -v[22:23]
	v_addc_co_u32_e32 v15, vcc, v15, v54, vcc
	global_store_dwordx4 v[14:15], v[4:7], off
	v_mul_f64 v[0:1], v[8:9], s[2:3]
	v_mul_f64 v[2:3], v[10:11], s[2:3]
	;; [unrolled: 1-line block ×4, first 2 shown]
	v_add_co_u32_e32 v8, vcc, s4, v14
	v_addc_co_u32_e32 v9, vcc, v15, v54, vcc
	global_store_dwordx4 v[8:9], v[0:3], off
	s_nop 0
	v_add_co_u32_e32 v0, vcc, s4, v8
	v_addc_co_u32_e32 v1, vcc, v9, v54, vcc
	global_store_dwordx4 v[0:1], v[4:7], off
	s_and_b64 exec, exec, s[0:1]
	s_cbranch_execz .LBB0_39
; %bb.38:
	v_add_co_u32_e32 v10, vcc, 0x1000, v215
	v_addc_co_u32_e32 v11, vcc, 0, v216, vcc
	s_movk_i32 s0, 0x2000
	v_add_co_u32_e32 v12, vcc, s0, v215
	v_addc_co_u32_e32 v13, vcc, 0, v216, vcc
	s_movk_i32 s0, 0x4000
	global_load_dwordx4 v[2:5], v[10:11], off offset:1536
	global_load_dwordx4 v[6:9], v[12:13], off offset:3776
	v_add_co_u32_e32 v10, vcc, s0, v215
	v_addc_co_u32_e32 v11, vcc, 0, v216, vcc
	s_movk_i32 s0, 0x6000
	v_add_co_u32_e32 v14, vcc, s0, v215
	global_load_dwordx4 v[10:13], v[10:11], off offset:1920
	v_addc_co_u32_e32 v15, vcc, 0, v216, vcc
	global_load_dwordx4 v[14:17], v[14:15], off offset:64
	ds_read_b128 v[18:21], v255 offset:5632
	ds_read_b128 v[22:25], v255 offset:11968
	;; [unrolled: 1-line block ×4, first 2 shown]
	v_mov_b32_e32 v35, s7
	v_add_co_u32_e32 v34, vcc, s6, v0
	v_addc_co_u32_e32 v35, vcc, v1, v35, vcc
	v_mov_b32_e32 v46, s5
	v_add_co_u32_e32 v36, vcc, s4, v34
	v_addc_co_u32_e32 v37, vcc, v35, v46, vcc
	v_add_co_u32_e32 v38, vcc, s4, v36
	v_addc_co_u32_e32 v39, vcc, v37, v46, vcc
	s_waitcnt vmcnt(3) lgkmcnt(3)
	v_mul_f64 v[0:1], v[20:21], v[4:5]
	v_mul_f64 v[4:5], v[18:19], v[4:5]
	s_waitcnt vmcnt(2) lgkmcnt(2)
	v_mul_f64 v[40:41], v[24:25], v[8:9]
	v_mul_f64 v[8:9], v[22:23], v[8:9]
	v_fma_f64 v[0:1], v[18:19], v[2:3], v[0:1]
	s_waitcnt vmcnt(1) lgkmcnt(1)
	v_mul_f64 v[42:43], v[28:29], v[12:13]
	v_mul_f64 v[12:13], v[26:27], v[12:13]
	v_fma_f64 v[2:3], v[2:3], v[20:21], -v[4:5]
	s_waitcnt vmcnt(0) lgkmcnt(0)
	v_mul_f64 v[44:45], v[32:33], v[16:17]
	v_mul_f64 v[16:17], v[30:31], v[16:17]
	v_fma_f64 v[4:5], v[22:23], v[6:7], v[40:41]
	v_fma_f64 v[6:7], v[6:7], v[24:25], -v[8:9]
	v_mul_f64 v[0:1], v[0:1], s[2:3]
	v_fma_f64 v[8:9], v[26:27], v[10:11], v[42:43]
	v_fma_f64 v[10:11], v[10:11], v[28:29], -v[12:13]
	;; [unrolled: 3-line block ×3, first 2 shown]
	v_mul_f64 v[4:5], v[4:5], s[2:3]
	v_mul_f64 v[6:7], v[6:7], s[2:3]
	v_add_co_u32_e32 v16, vcc, s4, v38
	v_mul_f64 v[8:9], v[8:9], s[2:3]
	v_mul_f64 v[10:11], v[10:11], s[2:3]
	;; [unrolled: 1-line block ×4, first 2 shown]
	v_addc_co_u32_e32 v17, vcc, v39, v46, vcc
	global_store_dwordx4 v[34:35], v[0:3], off
	global_store_dwordx4 v[36:37], v[4:7], off
	;; [unrolled: 1-line block ×4, first 2 shown]
.LBB0_39:
	s_endpgm
	.section	.rodata,"a",@progbits
	.p2align	6, 0x0
	.amdhsa_kernel bluestein_single_fwd_len1584_dim1_dp_op_CI_CI
		.amdhsa_group_segment_fixed_size 25344
		.amdhsa_private_segment_fixed_size 260
		.amdhsa_kernarg_size 104
		.amdhsa_user_sgpr_count 6
		.amdhsa_user_sgpr_private_segment_buffer 1
		.amdhsa_user_sgpr_dispatch_ptr 0
		.amdhsa_user_sgpr_queue_ptr 0
		.amdhsa_user_sgpr_kernarg_segment_ptr 1
		.amdhsa_user_sgpr_dispatch_id 0
		.amdhsa_user_sgpr_flat_scratch_init 0
		.amdhsa_user_sgpr_private_segment_size 0
		.amdhsa_uses_dynamic_stack 0
		.amdhsa_system_sgpr_private_segment_wavefront_offset 1
		.amdhsa_system_sgpr_workgroup_id_x 1
		.amdhsa_system_sgpr_workgroup_id_y 0
		.amdhsa_system_sgpr_workgroup_id_z 0
		.amdhsa_system_sgpr_workgroup_info 0
		.amdhsa_system_vgpr_workitem_id 0
		.amdhsa_next_free_vgpr 256
		.amdhsa_next_free_sgpr 56
		.amdhsa_reserve_vcc 1
		.amdhsa_reserve_flat_scratch 0
		.amdhsa_float_round_mode_32 0
		.amdhsa_float_round_mode_16_64 0
		.amdhsa_float_denorm_mode_32 3
		.amdhsa_float_denorm_mode_16_64 3
		.amdhsa_dx10_clamp 1
		.amdhsa_ieee_mode 1
		.amdhsa_fp16_overflow 0
		.amdhsa_exception_fp_ieee_invalid_op 0
		.amdhsa_exception_fp_denorm_src 0
		.amdhsa_exception_fp_ieee_div_zero 0
		.amdhsa_exception_fp_ieee_overflow 0
		.amdhsa_exception_fp_ieee_underflow 0
		.amdhsa_exception_fp_ieee_inexact 0
		.amdhsa_exception_int_div_zero 0
	.end_amdhsa_kernel
	.text
.Lfunc_end0:
	.size	bluestein_single_fwd_len1584_dim1_dp_op_CI_CI, .Lfunc_end0-bluestein_single_fwd_len1584_dim1_dp_op_CI_CI
                                        ; -- End function
	.section	.AMDGPU.csdata,"",@progbits
; Kernel info:
; codeLenInByte = 17776
; NumSgprs: 60
; NumVgprs: 256
; ScratchSize: 260
; MemoryBound: 0
; FloatMode: 240
; IeeeMode: 1
; LDSByteSize: 25344 bytes/workgroup (compile time only)
; SGPRBlocks: 7
; VGPRBlocks: 63
; NumSGPRsForWavesPerEU: 60
; NumVGPRsForWavesPerEU: 256
; Occupancy: 1
; WaveLimiterHint : 1
; COMPUTE_PGM_RSRC2:SCRATCH_EN: 1
; COMPUTE_PGM_RSRC2:USER_SGPR: 6
; COMPUTE_PGM_RSRC2:TRAP_HANDLER: 0
; COMPUTE_PGM_RSRC2:TGID_X_EN: 1
; COMPUTE_PGM_RSRC2:TGID_Y_EN: 0
; COMPUTE_PGM_RSRC2:TGID_Z_EN: 0
; COMPUTE_PGM_RSRC2:TIDIG_COMP_CNT: 0
	.type	__hip_cuid_68ab2affe5598066,@object ; @__hip_cuid_68ab2affe5598066
	.section	.bss,"aw",@nobits
	.globl	__hip_cuid_68ab2affe5598066
__hip_cuid_68ab2affe5598066:
	.byte	0                               ; 0x0
	.size	__hip_cuid_68ab2affe5598066, 1

	.ident	"AMD clang version 19.0.0git (https://github.com/RadeonOpenCompute/llvm-project roc-6.4.0 25133 c7fe45cf4b819c5991fe208aaa96edf142730f1d)"
	.section	".note.GNU-stack","",@progbits
	.addrsig
	.addrsig_sym __hip_cuid_68ab2affe5598066
	.amdgpu_metadata
---
amdhsa.kernels:
  - .args:
      - .actual_access:  read_only
        .address_space:  global
        .offset:         0
        .size:           8
        .value_kind:     global_buffer
      - .actual_access:  read_only
        .address_space:  global
        .offset:         8
        .size:           8
        .value_kind:     global_buffer
      - .actual_access:  read_only
        .address_space:  global
        .offset:         16
        .size:           8
        .value_kind:     global_buffer
      - .actual_access:  read_only
        .address_space:  global
        .offset:         24
        .size:           8
        .value_kind:     global_buffer
      - .actual_access:  read_only
        .address_space:  global
        .offset:         32
        .size:           8
        .value_kind:     global_buffer
      - .offset:         40
        .size:           8
        .value_kind:     by_value
      - .address_space:  global
        .offset:         48
        .size:           8
        .value_kind:     global_buffer
      - .address_space:  global
        .offset:         56
        .size:           8
        .value_kind:     global_buffer
      - .address_space:  global
        .offset:         64
        .size:           8
        .value_kind:     global_buffer
      - .address_space:  global
        .offset:         72
        .size:           8
        .value_kind:     global_buffer
      - .offset:         80
        .size:           4
        .value_kind:     by_value
      - .address_space:  global
        .offset:         88
        .size:           8
        .value_kind:     global_buffer
      - .address_space:  global
        .offset:         96
        .size:           8
        .value_kind:     global_buffer
    .group_segment_fixed_size: 25344
    .kernarg_segment_align: 8
    .kernarg_segment_size: 104
    .language:       OpenCL C
    .language_version:
      - 2
      - 0
    .max_flat_workgroup_size: 176
    .name:           bluestein_single_fwd_len1584_dim1_dp_op_CI_CI
    .private_segment_fixed_size: 260
    .sgpr_count:     60
    .sgpr_spill_count: 0
    .symbol:         bluestein_single_fwd_len1584_dim1_dp_op_CI_CI.kd
    .uniform_work_group_size: 1
    .uses_dynamic_stack: false
    .vgpr_count:     256
    .vgpr_spill_count: 64
    .wavefront_size: 64
amdhsa.target:   amdgcn-amd-amdhsa--gfx906
amdhsa.version:
  - 1
  - 2
...

	.end_amdgpu_metadata
